;; amdgpu-corpus repo=ROCm/rocSPARSE kind=compiled arch=gfx1030 opt=O3
	.amdgcn_target "amdgcn-amd-amdhsa--gfx1030"
	.amdhsa_code_object_version 6
	.section	.text._ZN9rocsparseL16coo2dense_kernelILj512EiDF16_EEvT0_S1_ll21rocsparse_index_base_PKT1_PKS1_S7_PS3_16rocsparse_order_,"axG",@progbits,_ZN9rocsparseL16coo2dense_kernelILj512EiDF16_EEvT0_S1_ll21rocsparse_index_base_PKT1_PKS1_S7_PS3_16rocsparse_order_,comdat
	.globl	_ZN9rocsparseL16coo2dense_kernelILj512EiDF16_EEvT0_S1_ll21rocsparse_index_base_PKT1_PKS1_S7_PS3_16rocsparse_order_ ; -- Begin function _ZN9rocsparseL16coo2dense_kernelILj512EiDF16_EEvT0_S1_ll21rocsparse_index_base_PKT1_PKS1_S7_PS3_16rocsparse_order_
	.p2align	8
	.type	_ZN9rocsparseL16coo2dense_kernelILj512EiDF16_EEvT0_S1_ll21rocsparse_index_base_PKT1_PKS1_S7_PS3_16rocsparse_order_,@function
_ZN9rocsparseL16coo2dense_kernelILj512EiDF16_EEvT0_S1_ll21rocsparse_index_base_PKT1_PKS1_S7_PS3_16rocsparse_order_: ; @_ZN9rocsparseL16coo2dense_kernelILj512EiDF16_EEvT0_S1_ll21rocsparse_index_base_PKT1_PKS1_S7_PS3_16rocsparse_order_
; %bb.0:
	s_load_dwordx4 s[0:3], s[4:5], 0x8
	v_lshl_or_b32 v0, s6, 9, v0
	v_mov_b32_e32 v1, 0
	s_waitcnt lgkmcnt(0)
	v_cmp_gt_i64_e32 vcc_lo, s[0:1], v[0:1]
	s_and_saveexec_b32 s0, vcc_lo
	s_cbranch_execz .LBB0_2
; %bb.1:
	s_load_dwordx8 s[8:15], s[4:5], 0x20
	v_lshlrev_b64 v[2:3], 2, v[0:1]
	v_lshlrev_b64 v[0:1], 1, v[0:1]
	s_waitcnt lgkmcnt(0)
	v_add_co_u32 v4, vcc_lo, s10, v2
	v_add_co_ci_u32_e64 v5, null, s11, v3, vcc_lo
	v_add_co_u32 v2, vcc_lo, s12, v2
	v_add_co_ci_u32_e64 v3, null, s13, v3, vcc_lo
	global_load_dword v4, v[4:5], off
	global_load_dword v2, v[2:3], off
	v_add_co_u32 v0, vcc_lo, s8, v0
	v_add_co_ci_u32_e64 v1, null, s9, v1, vcc_lo
	global_load_ushort v5, v[0:1], off
	s_clause 0x1
	s_load_dword s0, s[4:5], 0x18
	s_load_dword s1, s[4:5], 0x40
	s_waitcnt lgkmcnt(0)
	s_cmp_eq_u32 s1, 1
	s_cselect_b32 vcc_lo, -1, 0
	s_waitcnt vmcnt(2)
	v_subrev_nc_u32_e32 v3, s0, v4
	s_waitcnt vmcnt(1)
	v_subrev_nc_u32_e32 v2, s0, v2
	v_cndmask_b32_e32 v0, v3, v2, vcc_lo
	v_cndmask_b32_e32 v2, v2, v3, vcc_lo
	v_ashrrev_i32_e32 v4, 31, v0
	v_mul_lo_u32 v6, s3, v0
	v_mad_u64_u32 v[0:1], null, s2, v0, 0
	v_ashrrev_i32_e32 v3, 31, v2
	v_mul_lo_u32 v4, s2, v4
	v_lshlrev_b64 v[2:3], 1, v[2:3]
	v_add3_u32 v1, v1, v4, v6
	v_lshlrev_b64 v[0:1], 1, v[0:1]
	v_add_co_u32 v0, vcc_lo, s14, v0
	v_add_co_ci_u32_e64 v1, null, s15, v1, vcc_lo
	v_add_co_u32 v0, vcc_lo, v0, v2
	v_add_co_ci_u32_e64 v1, null, v1, v3, vcc_lo
	s_waitcnt vmcnt(0)
	global_store_short v[0:1], v5, off
.LBB0_2:
	s_endpgm
	.section	.rodata,"a",@progbits
	.p2align	6, 0x0
	.amdhsa_kernel _ZN9rocsparseL16coo2dense_kernelILj512EiDF16_EEvT0_S1_ll21rocsparse_index_base_PKT1_PKS1_S7_PS3_16rocsparse_order_
		.amdhsa_group_segment_fixed_size 0
		.amdhsa_private_segment_fixed_size 0
		.amdhsa_kernarg_size 68
		.amdhsa_user_sgpr_count 6
		.amdhsa_user_sgpr_private_segment_buffer 1
		.amdhsa_user_sgpr_dispatch_ptr 0
		.amdhsa_user_sgpr_queue_ptr 0
		.amdhsa_user_sgpr_kernarg_segment_ptr 1
		.amdhsa_user_sgpr_dispatch_id 0
		.amdhsa_user_sgpr_flat_scratch_init 0
		.amdhsa_user_sgpr_private_segment_size 0
		.amdhsa_wavefront_size32 1
		.amdhsa_uses_dynamic_stack 0
		.amdhsa_system_sgpr_private_segment_wavefront_offset 0
		.amdhsa_system_sgpr_workgroup_id_x 1
		.amdhsa_system_sgpr_workgroup_id_y 0
		.amdhsa_system_sgpr_workgroup_id_z 0
		.amdhsa_system_sgpr_workgroup_info 0
		.amdhsa_system_vgpr_workitem_id 0
		.amdhsa_next_free_vgpr 7
		.amdhsa_next_free_sgpr 16
		.amdhsa_reserve_vcc 1
		.amdhsa_reserve_flat_scratch 0
		.amdhsa_float_round_mode_32 0
		.amdhsa_float_round_mode_16_64 0
		.amdhsa_float_denorm_mode_32 3
		.amdhsa_float_denorm_mode_16_64 3
		.amdhsa_dx10_clamp 1
		.amdhsa_ieee_mode 1
		.amdhsa_fp16_overflow 0
		.amdhsa_workgroup_processor_mode 1
		.amdhsa_memory_ordered 1
		.amdhsa_forward_progress 1
		.amdhsa_shared_vgpr_count 0
		.amdhsa_exception_fp_ieee_invalid_op 0
		.amdhsa_exception_fp_denorm_src 0
		.amdhsa_exception_fp_ieee_div_zero 0
		.amdhsa_exception_fp_ieee_overflow 0
		.amdhsa_exception_fp_ieee_underflow 0
		.amdhsa_exception_fp_ieee_inexact 0
		.amdhsa_exception_int_div_zero 0
	.end_amdhsa_kernel
	.section	.text._ZN9rocsparseL16coo2dense_kernelILj512EiDF16_EEvT0_S1_ll21rocsparse_index_base_PKT1_PKS1_S7_PS3_16rocsparse_order_,"axG",@progbits,_ZN9rocsparseL16coo2dense_kernelILj512EiDF16_EEvT0_S1_ll21rocsparse_index_base_PKT1_PKS1_S7_PS3_16rocsparse_order_,comdat
.Lfunc_end0:
	.size	_ZN9rocsparseL16coo2dense_kernelILj512EiDF16_EEvT0_S1_ll21rocsparse_index_base_PKT1_PKS1_S7_PS3_16rocsparse_order_, .Lfunc_end0-_ZN9rocsparseL16coo2dense_kernelILj512EiDF16_EEvT0_S1_ll21rocsparse_index_base_PKT1_PKS1_S7_PS3_16rocsparse_order_
                                        ; -- End function
	.set _ZN9rocsparseL16coo2dense_kernelILj512EiDF16_EEvT0_S1_ll21rocsparse_index_base_PKT1_PKS1_S7_PS3_16rocsparse_order_.num_vgpr, 7
	.set _ZN9rocsparseL16coo2dense_kernelILj512EiDF16_EEvT0_S1_ll21rocsparse_index_base_PKT1_PKS1_S7_PS3_16rocsparse_order_.num_agpr, 0
	.set _ZN9rocsparseL16coo2dense_kernelILj512EiDF16_EEvT0_S1_ll21rocsparse_index_base_PKT1_PKS1_S7_PS3_16rocsparse_order_.numbered_sgpr, 16
	.set _ZN9rocsparseL16coo2dense_kernelILj512EiDF16_EEvT0_S1_ll21rocsparse_index_base_PKT1_PKS1_S7_PS3_16rocsparse_order_.num_named_barrier, 0
	.set _ZN9rocsparseL16coo2dense_kernelILj512EiDF16_EEvT0_S1_ll21rocsparse_index_base_PKT1_PKS1_S7_PS3_16rocsparse_order_.private_seg_size, 0
	.set _ZN9rocsparseL16coo2dense_kernelILj512EiDF16_EEvT0_S1_ll21rocsparse_index_base_PKT1_PKS1_S7_PS3_16rocsparse_order_.uses_vcc, 1
	.set _ZN9rocsparseL16coo2dense_kernelILj512EiDF16_EEvT0_S1_ll21rocsparse_index_base_PKT1_PKS1_S7_PS3_16rocsparse_order_.uses_flat_scratch, 0
	.set _ZN9rocsparseL16coo2dense_kernelILj512EiDF16_EEvT0_S1_ll21rocsparse_index_base_PKT1_PKS1_S7_PS3_16rocsparse_order_.has_dyn_sized_stack, 0
	.set _ZN9rocsparseL16coo2dense_kernelILj512EiDF16_EEvT0_S1_ll21rocsparse_index_base_PKT1_PKS1_S7_PS3_16rocsparse_order_.has_recursion, 0
	.set _ZN9rocsparseL16coo2dense_kernelILj512EiDF16_EEvT0_S1_ll21rocsparse_index_base_PKT1_PKS1_S7_PS3_16rocsparse_order_.has_indirect_call, 0
	.section	.AMDGPU.csdata,"",@progbits
; Kernel info:
; codeLenInByte = 296
; TotalNumSgprs: 18
; NumVgprs: 7
; ScratchSize: 0
; MemoryBound: 0
; FloatMode: 240
; IeeeMode: 1
; LDSByteSize: 0 bytes/workgroup (compile time only)
; SGPRBlocks: 0
; VGPRBlocks: 0
; NumSGPRsForWavesPerEU: 18
; NumVGPRsForWavesPerEU: 7
; Occupancy: 16
; WaveLimiterHint : 1
; COMPUTE_PGM_RSRC2:SCRATCH_EN: 0
; COMPUTE_PGM_RSRC2:USER_SGPR: 6
; COMPUTE_PGM_RSRC2:TRAP_HANDLER: 0
; COMPUTE_PGM_RSRC2:TGID_X_EN: 1
; COMPUTE_PGM_RSRC2:TGID_Y_EN: 0
; COMPUTE_PGM_RSRC2:TGID_Z_EN: 0
; COMPUTE_PGM_RSRC2:TIDIG_COMP_CNT: 0
	.section	.text._ZN9rocsparseL16coo2dense_kernelILj512Ei18rocsparse_bfloat16EEvT0_S2_ll21rocsparse_index_base_PKT1_PKS2_S8_PS4_16rocsparse_order_,"axG",@progbits,_ZN9rocsparseL16coo2dense_kernelILj512Ei18rocsparse_bfloat16EEvT0_S2_ll21rocsparse_index_base_PKT1_PKS2_S8_PS4_16rocsparse_order_,comdat
	.globl	_ZN9rocsparseL16coo2dense_kernelILj512Ei18rocsparse_bfloat16EEvT0_S2_ll21rocsparse_index_base_PKT1_PKS2_S8_PS4_16rocsparse_order_ ; -- Begin function _ZN9rocsparseL16coo2dense_kernelILj512Ei18rocsparse_bfloat16EEvT0_S2_ll21rocsparse_index_base_PKT1_PKS2_S8_PS4_16rocsparse_order_
	.p2align	8
	.type	_ZN9rocsparseL16coo2dense_kernelILj512Ei18rocsparse_bfloat16EEvT0_S2_ll21rocsparse_index_base_PKT1_PKS2_S8_PS4_16rocsparse_order_,@function
_ZN9rocsparseL16coo2dense_kernelILj512Ei18rocsparse_bfloat16EEvT0_S2_ll21rocsparse_index_base_PKT1_PKS2_S8_PS4_16rocsparse_order_: ; @_ZN9rocsparseL16coo2dense_kernelILj512Ei18rocsparse_bfloat16EEvT0_S2_ll21rocsparse_index_base_PKT1_PKS2_S8_PS4_16rocsparse_order_
; %bb.0:
	s_load_dwordx4 s[0:3], s[4:5], 0x8
	v_lshl_or_b32 v0, s6, 9, v0
	v_mov_b32_e32 v1, 0
	s_waitcnt lgkmcnt(0)
	v_cmp_gt_i64_e32 vcc_lo, s[0:1], v[0:1]
	s_and_saveexec_b32 s0, vcc_lo
	s_cbranch_execz .LBB1_2
; %bb.1:
	s_load_dwordx8 s[8:15], s[4:5], 0x20
	v_lshlrev_b64 v[2:3], 2, v[0:1]
	v_lshlrev_b64 v[0:1], 1, v[0:1]
	s_waitcnt lgkmcnt(0)
	v_add_co_u32 v4, vcc_lo, s10, v2
	v_add_co_ci_u32_e64 v5, null, s11, v3, vcc_lo
	v_add_co_u32 v2, vcc_lo, s12, v2
	v_add_co_ci_u32_e64 v3, null, s13, v3, vcc_lo
	global_load_dword v4, v[4:5], off
	global_load_dword v2, v[2:3], off
	v_add_co_u32 v0, vcc_lo, s8, v0
	v_add_co_ci_u32_e64 v1, null, s9, v1, vcc_lo
	global_load_ushort v5, v[0:1], off
	s_clause 0x1
	s_load_dword s0, s[4:5], 0x18
	s_load_dword s1, s[4:5], 0x40
	s_waitcnt lgkmcnt(0)
	s_cmp_eq_u32 s1, 1
	s_cselect_b32 vcc_lo, -1, 0
	s_waitcnt vmcnt(2)
	v_subrev_nc_u32_e32 v3, s0, v4
	s_waitcnt vmcnt(1)
	v_subrev_nc_u32_e32 v2, s0, v2
	v_cndmask_b32_e32 v0, v3, v2, vcc_lo
	v_cndmask_b32_e32 v2, v2, v3, vcc_lo
	v_ashrrev_i32_e32 v4, 31, v0
	v_mul_lo_u32 v6, s3, v0
	v_mad_u64_u32 v[0:1], null, s2, v0, 0
	v_ashrrev_i32_e32 v3, 31, v2
	v_mul_lo_u32 v4, s2, v4
	v_lshlrev_b64 v[2:3], 1, v[2:3]
	v_add3_u32 v1, v1, v4, v6
	v_lshlrev_b64 v[0:1], 1, v[0:1]
	v_add_co_u32 v0, vcc_lo, s14, v0
	v_add_co_ci_u32_e64 v1, null, s15, v1, vcc_lo
	v_add_co_u32 v0, vcc_lo, v0, v2
	v_add_co_ci_u32_e64 v1, null, v1, v3, vcc_lo
	s_waitcnt vmcnt(0)
	global_store_short v[0:1], v5, off
.LBB1_2:
	s_endpgm
	.section	.rodata,"a",@progbits
	.p2align	6, 0x0
	.amdhsa_kernel _ZN9rocsparseL16coo2dense_kernelILj512Ei18rocsparse_bfloat16EEvT0_S2_ll21rocsparse_index_base_PKT1_PKS2_S8_PS4_16rocsparse_order_
		.amdhsa_group_segment_fixed_size 0
		.amdhsa_private_segment_fixed_size 0
		.amdhsa_kernarg_size 68
		.amdhsa_user_sgpr_count 6
		.amdhsa_user_sgpr_private_segment_buffer 1
		.amdhsa_user_sgpr_dispatch_ptr 0
		.amdhsa_user_sgpr_queue_ptr 0
		.amdhsa_user_sgpr_kernarg_segment_ptr 1
		.amdhsa_user_sgpr_dispatch_id 0
		.amdhsa_user_sgpr_flat_scratch_init 0
		.amdhsa_user_sgpr_private_segment_size 0
		.amdhsa_wavefront_size32 1
		.amdhsa_uses_dynamic_stack 0
		.amdhsa_system_sgpr_private_segment_wavefront_offset 0
		.amdhsa_system_sgpr_workgroup_id_x 1
		.amdhsa_system_sgpr_workgroup_id_y 0
		.amdhsa_system_sgpr_workgroup_id_z 0
		.amdhsa_system_sgpr_workgroup_info 0
		.amdhsa_system_vgpr_workitem_id 0
		.amdhsa_next_free_vgpr 7
		.amdhsa_next_free_sgpr 16
		.amdhsa_reserve_vcc 1
		.amdhsa_reserve_flat_scratch 0
		.amdhsa_float_round_mode_32 0
		.amdhsa_float_round_mode_16_64 0
		.amdhsa_float_denorm_mode_32 3
		.amdhsa_float_denorm_mode_16_64 3
		.amdhsa_dx10_clamp 1
		.amdhsa_ieee_mode 1
		.amdhsa_fp16_overflow 0
		.amdhsa_workgroup_processor_mode 1
		.amdhsa_memory_ordered 1
		.amdhsa_forward_progress 1
		.amdhsa_shared_vgpr_count 0
		.amdhsa_exception_fp_ieee_invalid_op 0
		.amdhsa_exception_fp_denorm_src 0
		.amdhsa_exception_fp_ieee_div_zero 0
		.amdhsa_exception_fp_ieee_overflow 0
		.amdhsa_exception_fp_ieee_underflow 0
		.amdhsa_exception_fp_ieee_inexact 0
		.amdhsa_exception_int_div_zero 0
	.end_amdhsa_kernel
	.section	.text._ZN9rocsparseL16coo2dense_kernelILj512Ei18rocsparse_bfloat16EEvT0_S2_ll21rocsparse_index_base_PKT1_PKS2_S8_PS4_16rocsparse_order_,"axG",@progbits,_ZN9rocsparseL16coo2dense_kernelILj512Ei18rocsparse_bfloat16EEvT0_S2_ll21rocsparse_index_base_PKT1_PKS2_S8_PS4_16rocsparse_order_,comdat
.Lfunc_end1:
	.size	_ZN9rocsparseL16coo2dense_kernelILj512Ei18rocsparse_bfloat16EEvT0_S2_ll21rocsparse_index_base_PKT1_PKS2_S8_PS4_16rocsparse_order_, .Lfunc_end1-_ZN9rocsparseL16coo2dense_kernelILj512Ei18rocsparse_bfloat16EEvT0_S2_ll21rocsparse_index_base_PKT1_PKS2_S8_PS4_16rocsparse_order_
                                        ; -- End function
	.set _ZN9rocsparseL16coo2dense_kernelILj512Ei18rocsparse_bfloat16EEvT0_S2_ll21rocsparse_index_base_PKT1_PKS2_S8_PS4_16rocsparse_order_.num_vgpr, 7
	.set _ZN9rocsparseL16coo2dense_kernelILj512Ei18rocsparse_bfloat16EEvT0_S2_ll21rocsparse_index_base_PKT1_PKS2_S8_PS4_16rocsparse_order_.num_agpr, 0
	.set _ZN9rocsparseL16coo2dense_kernelILj512Ei18rocsparse_bfloat16EEvT0_S2_ll21rocsparse_index_base_PKT1_PKS2_S8_PS4_16rocsparse_order_.numbered_sgpr, 16
	.set _ZN9rocsparseL16coo2dense_kernelILj512Ei18rocsparse_bfloat16EEvT0_S2_ll21rocsparse_index_base_PKT1_PKS2_S8_PS4_16rocsparse_order_.num_named_barrier, 0
	.set _ZN9rocsparseL16coo2dense_kernelILj512Ei18rocsparse_bfloat16EEvT0_S2_ll21rocsparse_index_base_PKT1_PKS2_S8_PS4_16rocsparse_order_.private_seg_size, 0
	.set _ZN9rocsparseL16coo2dense_kernelILj512Ei18rocsparse_bfloat16EEvT0_S2_ll21rocsparse_index_base_PKT1_PKS2_S8_PS4_16rocsparse_order_.uses_vcc, 1
	.set _ZN9rocsparseL16coo2dense_kernelILj512Ei18rocsparse_bfloat16EEvT0_S2_ll21rocsparse_index_base_PKT1_PKS2_S8_PS4_16rocsparse_order_.uses_flat_scratch, 0
	.set _ZN9rocsparseL16coo2dense_kernelILj512Ei18rocsparse_bfloat16EEvT0_S2_ll21rocsparse_index_base_PKT1_PKS2_S8_PS4_16rocsparse_order_.has_dyn_sized_stack, 0
	.set _ZN9rocsparseL16coo2dense_kernelILj512Ei18rocsparse_bfloat16EEvT0_S2_ll21rocsparse_index_base_PKT1_PKS2_S8_PS4_16rocsparse_order_.has_recursion, 0
	.set _ZN9rocsparseL16coo2dense_kernelILj512Ei18rocsparse_bfloat16EEvT0_S2_ll21rocsparse_index_base_PKT1_PKS2_S8_PS4_16rocsparse_order_.has_indirect_call, 0
	.section	.AMDGPU.csdata,"",@progbits
; Kernel info:
; codeLenInByte = 296
; TotalNumSgprs: 18
; NumVgprs: 7
; ScratchSize: 0
; MemoryBound: 0
; FloatMode: 240
; IeeeMode: 1
; LDSByteSize: 0 bytes/workgroup (compile time only)
; SGPRBlocks: 0
; VGPRBlocks: 0
; NumSGPRsForWavesPerEU: 18
; NumVGPRsForWavesPerEU: 7
; Occupancy: 16
; WaveLimiterHint : 1
; COMPUTE_PGM_RSRC2:SCRATCH_EN: 0
; COMPUTE_PGM_RSRC2:USER_SGPR: 6
; COMPUTE_PGM_RSRC2:TRAP_HANDLER: 0
; COMPUTE_PGM_RSRC2:TGID_X_EN: 1
; COMPUTE_PGM_RSRC2:TGID_Y_EN: 0
; COMPUTE_PGM_RSRC2:TGID_Z_EN: 0
; COMPUTE_PGM_RSRC2:TIDIG_COMP_CNT: 0
	.section	.text._ZN9rocsparseL16coo2dense_kernelILj512EifEEvT0_S1_ll21rocsparse_index_base_PKT1_PKS1_S7_PS3_16rocsparse_order_,"axG",@progbits,_ZN9rocsparseL16coo2dense_kernelILj512EifEEvT0_S1_ll21rocsparse_index_base_PKT1_PKS1_S7_PS3_16rocsparse_order_,comdat
	.globl	_ZN9rocsparseL16coo2dense_kernelILj512EifEEvT0_S1_ll21rocsparse_index_base_PKT1_PKS1_S7_PS3_16rocsparse_order_ ; -- Begin function _ZN9rocsparseL16coo2dense_kernelILj512EifEEvT0_S1_ll21rocsparse_index_base_PKT1_PKS1_S7_PS3_16rocsparse_order_
	.p2align	8
	.type	_ZN9rocsparseL16coo2dense_kernelILj512EifEEvT0_S1_ll21rocsparse_index_base_PKT1_PKS1_S7_PS3_16rocsparse_order_,@function
_ZN9rocsparseL16coo2dense_kernelILj512EifEEvT0_S1_ll21rocsparse_index_base_PKT1_PKS1_S7_PS3_16rocsparse_order_: ; @_ZN9rocsparseL16coo2dense_kernelILj512EifEEvT0_S1_ll21rocsparse_index_base_PKT1_PKS1_S7_PS3_16rocsparse_order_
; %bb.0:
	s_load_dwordx4 s[0:3], s[4:5], 0x8
	v_lshl_or_b32 v0, s6, 9, v0
	v_mov_b32_e32 v1, 0
	s_waitcnt lgkmcnt(0)
	v_cmp_gt_i64_e32 vcc_lo, s[0:1], v[0:1]
	s_and_saveexec_b32 s0, vcc_lo
	s_cbranch_execz .LBB2_2
; %bb.1:
	s_load_dwordx8 s[8:15], s[4:5], 0x20
	v_lshlrev_b64 v[0:1], 2, v[0:1]
	s_waitcnt lgkmcnt(0)
	v_add_co_u32 v2, vcc_lo, s10, v0
	v_add_co_ci_u32_e64 v3, null, s11, v1, vcc_lo
	v_add_co_u32 v4, vcc_lo, s12, v0
	v_add_co_ci_u32_e64 v5, null, s13, v1, vcc_lo
	global_load_dword v2, v[2:3], off
	global_load_dword v3, v[4:5], off
	v_add_co_u32 v0, vcc_lo, s8, v0
	v_add_co_ci_u32_e64 v1, null, s9, v1, vcc_lo
	global_load_dword v4, v[0:1], off
	s_clause 0x1
	s_load_dword s0, s[4:5], 0x18
	s_load_dword s1, s[4:5], 0x40
	s_waitcnt lgkmcnt(0)
	s_cmp_eq_u32 s1, 1
	s_cselect_b32 vcc_lo, -1, 0
	s_waitcnt vmcnt(2)
	v_subrev_nc_u32_e32 v2, s0, v2
	s_waitcnt vmcnt(1)
	v_subrev_nc_u32_e32 v3, s0, v3
	v_cndmask_b32_e32 v0, v2, v3, vcc_lo
	v_cndmask_b32_e32 v2, v3, v2, vcc_lo
	v_ashrrev_i32_e32 v5, 31, v0
	v_mul_lo_u32 v6, s3, v0
	v_mad_u64_u32 v[0:1], null, s2, v0, 0
	v_ashrrev_i32_e32 v3, 31, v2
	v_mul_lo_u32 v5, s2, v5
	v_lshlrev_b64 v[2:3], 2, v[2:3]
	v_add3_u32 v1, v1, v5, v6
	v_lshlrev_b64 v[0:1], 2, v[0:1]
	v_add_co_u32 v0, vcc_lo, s14, v0
	v_add_co_ci_u32_e64 v1, null, s15, v1, vcc_lo
	v_add_co_u32 v0, vcc_lo, v0, v2
	v_add_co_ci_u32_e64 v1, null, v1, v3, vcc_lo
	s_waitcnt vmcnt(0)
	global_store_dword v[0:1], v4, off
.LBB2_2:
	s_endpgm
	.section	.rodata,"a",@progbits
	.p2align	6, 0x0
	.amdhsa_kernel _ZN9rocsparseL16coo2dense_kernelILj512EifEEvT0_S1_ll21rocsparse_index_base_PKT1_PKS1_S7_PS3_16rocsparse_order_
		.amdhsa_group_segment_fixed_size 0
		.amdhsa_private_segment_fixed_size 0
		.amdhsa_kernarg_size 68
		.amdhsa_user_sgpr_count 6
		.amdhsa_user_sgpr_private_segment_buffer 1
		.amdhsa_user_sgpr_dispatch_ptr 0
		.amdhsa_user_sgpr_queue_ptr 0
		.amdhsa_user_sgpr_kernarg_segment_ptr 1
		.amdhsa_user_sgpr_dispatch_id 0
		.amdhsa_user_sgpr_flat_scratch_init 0
		.amdhsa_user_sgpr_private_segment_size 0
		.amdhsa_wavefront_size32 1
		.amdhsa_uses_dynamic_stack 0
		.amdhsa_system_sgpr_private_segment_wavefront_offset 0
		.amdhsa_system_sgpr_workgroup_id_x 1
		.amdhsa_system_sgpr_workgroup_id_y 0
		.amdhsa_system_sgpr_workgroup_id_z 0
		.amdhsa_system_sgpr_workgroup_info 0
		.amdhsa_system_vgpr_workitem_id 0
		.amdhsa_next_free_vgpr 7
		.amdhsa_next_free_sgpr 16
		.amdhsa_reserve_vcc 1
		.amdhsa_reserve_flat_scratch 0
		.amdhsa_float_round_mode_32 0
		.amdhsa_float_round_mode_16_64 0
		.amdhsa_float_denorm_mode_32 3
		.amdhsa_float_denorm_mode_16_64 3
		.amdhsa_dx10_clamp 1
		.amdhsa_ieee_mode 1
		.amdhsa_fp16_overflow 0
		.amdhsa_workgroup_processor_mode 1
		.amdhsa_memory_ordered 1
		.amdhsa_forward_progress 1
		.amdhsa_shared_vgpr_count 0
		.amdhsa_exception_fp_ieee_invalid_op 0
		.amdhsa_exception_fp_denorm_src 0
		.amdhsa_exception_fp_ieee_div_zero 0
		.amdhsa_exception_fp_ieee_overflow 0
		.amdhsa_exception_fp_ieee_underflow 0
		.amdhsa_exception_fp_ieee_inexact 0
		.amdhsa_exception_int_div_zero 0
	.end_amdhsa_kernel
	.section	.text._ZN9rocsparseL16coo2dense_kernelILj512EifEEvT0_S1_ll21rocsparse_index_base_PKT1_PKS1_S7_PS3_16rocsparse_order_,"axG",@progbits,_ZN9rocsparseL16coo2dense_kernelILj512EifEEvT0_S1_ll21rocsparse_index_base_PKT1_PKS1_S7_PS3_16rocsparse_order_,comdat
.Lfunc_end2:
	.size	_ZN9rocsparseL16coo2dense_kernelILj512EifEEvT0_S1_ll21rocsparse_index_base_PKT1_PKS1_S7_PS3_16rocsparse_order_, .Lfunc_end2-_ZN9rocsparseL16coo2dense_kernelILj512EifEEvT0_S1_ll21rocsparse_index_base_PKT1_PKS1_S7_PS3_16rocsparse_order_
                                        ; -- End function
	.set _ZN9rocsparseL16coo2dense_kernelILj512EifEEvT0_S1_ll21rocsparse_index_base_PKT1_PKS1_S7_PS3_16rocsparse_order_.num_vgpr, 7
	.set _ZN9rocsparseL16coo2dense_kernelILj512EifEEvT0_S1_ll21rocsparse_index_base_PKT1_PKS1_S7_PS3_16rocsparse_order_.num_agpr, 0
	.set _ZN9rocsparseL16coo2dense_kernelILj512EifEEvT0_S1_ll21rocsparse_index_base_PKT1_PKS1_S7_PS3_16rocsparse_order_.numbered_sgpr, 16
	.set _ZN9rocsparseL16coo2dense_kernelILj512EifEEvT0_S1_ll21rocsparse_index_base_PKT1_PKS1_S7_PS3_16rocsparse_order_.num_named_barrier, 0
	.set _ZN9rocsparseL16coo2dense_kernelILj512EifEEvT0_S1_ll21rocsparse_index_base_PKT1_PKS1_S7_PS3_16rocsparse_order_.private_seg_size, 0
	.set _ZN9rocsparseL16coo2dense_kernelILj512EifEEvT0_S1_ll21rocsparse_index_base_PKT1_PKS1_S7_PS3_16rocsparse_order_.uses_vcc, 1
	.set _ZN9rocsparseL16coo2dense_kernelILj512EifEEvT0_S1_ll21rocsparse_index_base_PKT1_PKS1_S7_PS3_16rocsparse_order_.uses_flat_scratch, 0
	.set _ZN9rocsparseL16coo2dense_kernelILj512EifEEvT0_S1_ll21rocsparse_index_base_PKT1_PKS1_S7_PS3_16rocsparse_order_.has_dyn_sized_stack, 0
	.set _ZN9rocsparseL16coo2dense_kernelILj512EifEEvT0_S1_ll21rocsparse_index_base_PKT1_PKS1_S7_PS3_16rocsparse_order_.has_recursion, 0
	.set _ZN9rocsparseL16coo2dense_kernelILj512EifEEvT0_S1_ll21rocsparse_index_base_PKT1_PKS1_S7_PS3_16rocsparse_order_.has_indirect_call, 0
	.section	.AMDGPU.csdata,"",@progbits
; Kernel info:
; codeLenInByte = 288
; TotalNumSgprs: 18
; NumVgprs: 7
; ScratchSize: 0
; MemoryBound: 0
; FloatMode: 240
; IeeeMode: 1
; LDSByteSize: 0 bytes/workgroup (compile time only)
; SGPRBlocks: 0
; VGPRBlocks: 0
; NumSGPRsForWavesPerEU: 18
; NumVGPRsForWavesPerEU: 7
; Occupancy: 16
; WaveLimiterHint : 1
; COMPUTE_PGM_RSRC2:SCRATCH_EN: 0
; COMPUTE_PGM_RSRC2:USER_SGPR: 6
; COMPUTE_PGM_RSRC2:TRAP_HANDLER: 0
; COMPUTE_PGM_RSRC2:TGID_X_EN: 1
; COMPUTE_PGM_RSRC2:TGID_Y_EN: 0
; COMPUTE_PGM_RSRC2:TGID_Z_EN: 0
; COMPUTE_PGM_RSRC2:TIDIG_COMP_CNT: 0
	.section	.text._ZN9rocsparseL16coo2dense_kernelILj512EidEEvT0_S1_ll21rocsparse_index_base_PKT1_PKS1_S7_PS3_16rocsparse_order_,"axG",@progbits,_ZN9rocsparseL16coo2dense_kernelILj512EidEEvT0_S1_ll21rocsparse_index_base_PKT1_PKS1_S7_PS3_16rocsparse_order_,comdat
	.globl	_ZN9rocsparseL16coo2dense_kernelILj512EidEEvT0_S1_ll21rocsparse_index_base_PKT1_PKS1_S7_PS3_16rocsparse_order_ ; -- Begin function _ZN9rocsparseL16coo2dense_kernelILj512EidEEvT0_S1_ll21rocsparse_index_base_PKT1_PKS1_S7_PS3_16rocsparse_order_
	.p2align	8
	.type	_ZN9rocsparseL16coo2dense_kernelILj512EidEEvT0_S1_ll21rocsparse_index_base_PKT1_PKS1_S7_PS3_16rocsparse_order_,@function
_ZN9rocsparseL16coo2dense_kernelILj512EidEEvT0_S1_ll21rocsparse_index_base_PKT1_PKS1_S7_PS3_16rocsparse_order_: ; @_ZN9rocsparseL16coo2dense_kernelILj512EidEEvT0_S1_ll21rocsparse_index_base_PKT1_PKS1_S7_PS3_16rocsparse_order_
; %bb.0:
	s_load_dwordx4 s[0:3], s[4:5], 0x8
	v_lshl_or_b32 v0, s6, 9, v0
	v_mov_b32_e32 v1, 0
	s_waitcnt lgkmcnt(0)
	v_cmp_gt_i64_e32 vcc_lo, s[0:1], v[0:1]
	s_and_saveexec_b32 s0, vcc_lo
	s_cbranch_execz .LBB3_2
; %bb.1:
	s_load_dwordx8 s[8:15], s[4:5], 0x20
	v_lshlrev_b64 v[2:3], 2, v[0:1]
	v_lshlrev_b64 v[0:1], 3, v[0:1]
	s_waitcnt lgkmcnt(0)
	v_add_co_u32 v4, vcc_lo, s10, v2
	v_add_co_ci_u32_e64 v5, null, s11, v3, vcc_lo
	v_add_co_u32 v2, vcc_lo, s12, v2
	v_add_co_ci_u32_e64 v3, null, s13, v3, vcc_lo
	global_load_dword v4, v[4:5], off
	global_load_dword v2, v[2:3], off
	v_add_co_u32 v0, vcc_lo, s8, v0
	v_add_co_ci_u32_e64 v1, null, s9, v1, vcc_lo
	global_load_dwordx2 v[0:1], v[0:1], off
	s_clause 0x1
	s_load_dword s0, s[4:5], 0x18
	s_load_dword s1, s[4:5], 0x40
	s_waitcnt lgkmcnt(0)
	s_cmp_eq_u32 s1, 1
	s_cselect_b32 vcc_lo, -1, 0
	s_waitcnt vmcnt(2)
	v_subrev_nc_u32_e32 v4, s0, v4
	s_waitcnt vmcnt(1)
	v_subrev_nc_u32_e32 v5, s0, v2
	v_cndmask_b32_e32 v2, v4, v5, vcc_lo
	v_cndmask_b32_e32 v4, v5, v4, vcc_lo
	v_ashrrev_i32_e32 v6, 31, v2
	v_mul_lo_u32 v7, s3, v2
	v_mad_u64_u32 v[2:3], null, s2, v2, 0
	v_ashrrev_i32_e32 v5, 31, v4
	v_mul_lo_u32 v6, s2, v6
	v_lshlrev_b64 v[4:5], 3, v[4:5]
	v_add3_u32 v3, v3, v6, v7
	v_lshlrev_b64 v[2:3], 3, v[2:3]
	v_add_co_u32 v2, vcc_lo, s14, v2
	v_add_co_ci_u32_e64 v3, null, s15, v3, vcc_lo
	v_add_co_u32 v2, vcc_lo, v2, v4
	v_add_co_ci_u32_e64 v3, null, v3, v5, vcc_lo
	s_waitcnt vmcnt(0)
	global_store_dwordx2 v[2:3], v[0:1], off
.LBB3_2:
	s_endpgm
	.section	.rodata,"a",@progbits
	.p2align	6, 0x0
	.amdhsa_kernel _ZN9rocsparseL16coo2dense_kernelILj512EidEEvT0_S1_ll21rocsparse_index_base_PKT1_PKS1_S7_PS3_16rocsparse_order_
		.amdhsa_group_segment_fixed_size 0
		.amdhsa_private_segment_fixed_size 0
		.amdhsa_kernarg_size 68
		.amdhsa_user_sgpr_count 6
		.amdhsa_user_sgpr_private_segment_buffer 1
		.amdhsa_user_sgpr_dispatch_ptr 0
		.amdhsa_user_sgpr_queue_ptr 0
		.amdhsa_user_sgpr_kernarg_segment_ptr 1
		.amdhsa_user_sgpr_dispatch_id 0
		.amdhsa_user_sgpr_flat_scratch_init 0
		.amdhsa_user_sgpr_private_segment_size 0
		.amdhsa_wavefront_size32 1
		.amdhsa_uses_dynamic_stack 0
		.amdhsa_system_sgpr_private_segment_wavefront_offset 0
		.amdhsa_system_sgpr_workgroup_id_x 1
		.amdhsa_system_sgpr_workgroup_id_y 0
		.amdhsa_system_sgpr_workgroup_id_z 0
		.amdhsa_system_sgpr_workgroup_info 0
		.amdhsa_system_vgpr_workitem_id 0
		.amdhsa_next_free_vgpr 8
		.amdhsa_next_free_sgpr 16
		.amdhsa_reserve_vcc 1
		.amdhsa_reserve_flat_scratch 0
		.amdhsa_float_round_mode_32 0
		.amdhsa_float_round_mode_16_64 0
		.amdhsa_float_denorm_mode_32 3
		.amdhsa_float_denorm_mode_16_64 3
		.amdhsa_dx10_clamp 1
		.amdhsa_ieee_mode 1
		.amdhsa_fp16_overflow 0
		.amdhsa_workgroup_processor_mode 1
		.amdhsa_memory_ordered 1
		.amdhsa_forward_progress 1
		.amdhsa_shared_vgpr_count 0
		.amdhsa_exception_fp_ieee_invalid_op 0
		.amdhsa_exception_fp_denorm_src 0
		.amdhsa_exception_fp_ieee_div_zero 0
		.amdhsa_exception_fp_ieee_overflow 0
		.amdhsa_exception_fp_ieee_underflow 0
		.amdhsa_exception_fp_ieee_inexact 0
		.amdhsa_exception_int_div_zero 0
	.end_amdhsa_kernel
	.section	.text._ZN9rocsparseL16coo2dense_kernelILj512EidEEvT0_S1_ll21rocsparse_index_base_PKT1_PKS1_S7_PS3_16rocsparse_order_,"axG",@progbits,_ZN9rocsparseL16coo2dense_kernelILj512EidEEvT0_S1_ll21rocsparse_index_base_PKT1_PKS1_S7_PS3_16rocsparse_order_,comdat
.Lfunc_end3:
	.size	_ZN9rocsparseL16coo2dense_kernelILj512EidEEvT0_S1_ll21rocsparse_index_base_PKT1_PKS1_S7_PS3_16rocsparse_order_, .Lfunc_end3-_ZN9rocsparseL16coo2dense_kernelILj512EidEEvT0_S1_ll21rocsparse_index_base_PKT1_PKS1_S7_PS3_16rocsparse_order_
                                        ; -- End function
	.set _ZN9rocsparseL16coo2dense_kernelILj512EidEEvT0_S1_ll21rocsparse_index_base_PKT1_PKS1_S7_PS3_16rocsparse_order_.num_vgpr, 8
	.set _ZN9rocsparseL16coo2dense_kernelILj512EidEEvT0_S1_ll21rocsparse_index_base_PKT1_PKS1_S7_PS3_16rocsparse_order_.num_agpr, 0
	.set _ZN9rocsparseL16coo2dense_kernelILj512EidEEvT0_S1_ll21rocsparse_index_base_PKT1_PKS1_S7_PS3_16rocsparse_order_.numbered_sgpr, 16
	.set _ZN9rocsparseL16coo2dense_kernelILj512EidEEvT0_S1_ll21rocsparse_index_base_PKT1_PKS1_S7_PS3_16rocsparse_order_.num_named_barrier, 0
	.set _ZN9rocsparseL16coo2dense_kernelILj512EidEEvT0_S1_ll21rocsparse_index_base_PKT1_PKS1_S7_PS3_16rocsparse_order_.private_seg_size, 0
	.set _ZN9rocsparseL16coo2dense_kernelILj512EidEEvT0_S1_ll21rocsparse_index_base_PKT1_PKS1_S7_PS3_16rocsparse_order_.uses_vcc, 1
	.set _ZN9rocsparseL16coo2dense_kernelILj512EidEEvT0_S1_ll21rocsparse_index_base_PKT1_PKS1_S7_PS3_16rocsparse_order_.uses_flat_scratch, 0
	.set _ZN9rocsparseL16coo2dense_kernelILj512EidEEvT0_S1_ll21rocsparse_index_base_PKT1_PKS1_S7_PS3_16rocsparse_order_.has_dyn_sized_stack, 0
	.set _ZN9rocsparseL16coo2dense_kernelILj512EidEEvT0_S1_ll21rocsparse_index_base_PKT1_PKS1_S7_PS3_16rocsparse_order_.has_recursion, 0
	.set _ZN9rocsparseL16coo2dense_kernelILj512EidEEvT0_S1_ll21rocsparse_index_base_PKT1_PKS1_S7_PS3_16rocsparse_order_.has_indirect_call, 0
	.section	.AMDGPU.csdata,"",@progbits
; Kernel info:
; codeLenInByte = 296
; TotalNumSgprs: 18
; NumVgprs: 8
; ScratchSize: 0
; MemoryBound: 0
; FloatMode: 240
; IeeeMode: 1
; LDSByteSize: 0 bytes/workgroup (compile time only)
; SGPRBlocks: 0
; VGPRBlocks: 0
; NumSGPRsForWavesPerEU: 18
; NumVGPRsForWavesPerEU: 8
; Occupancy: 16
; WaveLimiterHint : 1
; COMPUTE_PGM_RSRC2:SCRATCH_EN: 0
; COMPUTE_PGM_RSRC2:USER_SGPR: 6
; COMPUTE_PGM_RSRC2:TRAP_HANDLER: 0
; COMPUTE_PGM_RSRC2:TGID_X_EN: 1
; COMPUTE_PGM_RSRC2:TGID_Y_EN: 0
; COMPUTE_PGM_RSRC2:TGID_Z_EN: 0
; COMPUTE_PGM_RSRC2:TIDIG_COMP_CNT: 0
	.section	.text._ZN9rocsparseL16coo2dense_kernelILj512Ei21rocsparse_complex_numIfEEEvT0_S3_ll21rocsparse_index_base_PKT1_PKS3_S9_PS5_16rocsparse_order_,"axG",@progbits,_ZN9rocsparseL16coo2dense_kernelILj512Ei21rocsparse_complex_numIfEEEvT0_S3_ll21rocsparse_index_base_PKT1_PKS3_S9_PS5_16rocsparse_order_,comdat
	.globl	_ZN9rocsparseL16coo2dense_kernelILj512Ei21rocsparse_complex_numIfEEEvT0_S3_ll21rocsparse_index_base_PKT1_PKS3_S9_PS5_16rocsparse_order_ ; -- Begin function _ZN9rocsparseL16coo2dense_kernelILj512Ei21rocsparse_complex_numIfEEEvT0_S3_ll21rocsparse_index_base_PKT1_PKS3_S9_PS5_16rocsparse_order_
	.p2align	8
	.type	_ZN9rocsparseL16coo2dense_kernelILj512Ei21rocsparse_complex_numIfEEEvT0_S3_ll21rocsparse_index_base_PKT1_PKS3_S9_PS5_16rocsparse_order_,@function
_ZN9rocsparseL16coo2dense_kernelILj512Ei21rocsparse_complex_numIfEEEvT0_S3_ll21rocsparse_index_base_PKT1_PKS3_S9_PS5_16rocsparse_order_: ; @_ZN9rocsparseL16coo2dense_kernelILj512Ei21rocsparse_complex_numIfEEEvT0_S3_ll21rocsparse_index_base_PKT1_PKS3_S9_PS5_16rocsparse_order_
; %bb.0:
	s_load_dwordx4 s[0:3], s[4:5], 0x8
	v_lshl_or_b32 v0, s6, 9, v0
	v_mov_b32_e32 v1, 0
	s_waitcnt lgkmcnt(0)
	v_cmp_gt_i64_e32 vcc_lo, s[0:1], v[0:1]
	s_and_saveexec_b32 s0, vcc_lo
	s_cbranch_execz .LBB4_2
; %bb.1:
	s_load_dwordx8 s[8:15], s[4:5], 0x20
	v_lshlrev_b64 v[2:3], 2, v[0:1]
	v_lshlrev_b64 v[0:1], 3, v[0:1]
	s_waitcnt lgkmcnt(0)
	v_add_co_u32 v4, vcc_lo, s10, v2
	v_add_co_ci_u32_e64 v5, null, s11, v3, vcc_lo
	v_add_co_u32 v2, vcc_lo, s12, v2
	v_add_co_ci_u32_e64 v3, null, s13, v3, vcc_lo
	global_load_dword v4, v[4:5], off
	global_load_dword v2, v[2:3], off
	v_add_co_u32 v0, vcc_lo, s8, v0
	v_add_co_ci_u32_e64 v1, null, s9, v1, vcc_lo
	global_load_dwordx2 v[0:1], v[0:1], off
	s_clause 0x1
	s_load_dword s0, s[4:5], 0x18
	s_load_dword s1, s[4:5], 0x40
	s_waitcnt lgkmcnt(0)
	s_cmp_eq_u32 s1, 1
	s_cselect_b32 vcc_lo, -1, 0
	s_waitcnt vmcnt(2)
	v_subrev_nc_u32_e32 v4, s0, v4
	s_waitcnt vmcnt(1)
	v_subrev_nc_u32_e32 v5, s0, v2
	v_cndmask_b32_e32 v2, v4, v5, vcc_lo
	v_cndmask_b32_e32 v4, v5, v4, vcc_lo
	v_ashrrev_i32_e32 v6, 31, v2
	v_mul_lo_u32 v7, s3, v2
	v_mad_u64_u32 v[2:3], null, s2, v2, 0
	v_ashrrev_i32_e32 v5, 31, v4
	v_mul_lo_u32 v6, s2, v6
	v_lshlrev_b64 v[4:5], 3, v[4:5]
	v_add3_u32 v3, v3, v6, v7
	v_lshlrev_b64 v[2:3], 3, v[2:3]
	v_add_co_u32 v2, vcc_lo, s14, v2
	v_add_co_ci_u32_e64 v3, null, s15, v3, vcc_lo
	v_add_co_u32 v2, vcc_lo, v2, v4
	v_add_co_ci_u32_e64 v3, null, v3, v5, vcc_lo
	s_waitcnt vmcnt(0)
	global_store_dwordx2 v[2:3], v[0:1], off
.LBB4_2:
	s_endpgm
	.section	.rodata,"a",@progbits
	.p2align	6, 0x0
	.amdhsa_kernel _ZN9rocsparseL16coo2dense_kernelILj512Ei21rocsparse_complex_numIfEEEvT0_S3_ll21rocsparse_index_base_PKT1_PKS3_S9_PS5_16rocsparse_order_
		.amdhsa_group_segment_fixed_size 0
		.amdhsa_private_segment_fixed_size 0
		.amdhsa_kernarg_size 68
		.amdhsa_user_sgpr_count 6
		.amdhsa_user_sgpr_private_segment_buffer 1
		.amdhsa_user_sgpr_dispatch_ptr 0
		.amdhsa_user_sgpr_queue_ptr 0
		.amdhsa_user_sgpr_kernarg_segment_ptr 1
		.amdhsa_user_sgpr_dispatch_id 0
		.amdhsa_user_sgpr_flat_scratch_init 0
		.amdhsa_user_sgpr_private_segment_size 0
		.amdhsa_wavefront_size32 1
		.amdhsa_uses_dynamic_stack 0
		.amdhsa_system_sgpr_private_segment_wavefront_offset 0
		.amdhsa_system_sgpr_workgroup_id_x 1
		.amdhsa_system_sgpr_workgroup_id_y 0
		.amdhsa_system_sgpr_workgroup_id_z 0
		.amdhsa_system_sgpr_workgroup_info 0
		.amdhsa_system_vgpr_workitem_id 0
		.amdhsa_next_free_vgpr 8
		.amdhsa_next_free_sgpr 16
		.amdhsa_reserve_vcc 1
		.amdhsa_reserve_flat_scratch 0
		.amdhsa_float_round_mode_32 0
		.amdhsa_float_round_mode_16_64 0
		.amdhsa_float_denorm_mode_32 3
		.amdhsa_float_denorm_mode_16_64 3
		.amdhsa_dx10_clamp 1
		.amdhsa_ieee_mode 1
		.amdhsa_fp16_overflow 0
		.amdhsa_workgroup_processor_mode 1
		.amdhsa_memory_ordered 1
		.amdhsa_forward_progress 1
		.amdhsa_shared_vgpr_count 0
		.amdhsa_exception_fp_ieee_invalid_op 0
		.amdhsa_exception_fp_denorm_src 0
		.amdhsa_exception_fp_ieee_div_zero 0
		.amdhsa_exception_fp_ieee_overflow 0
		.amdhsa_exception_fp_ieee_underflow 0
		.amdhsa_exception_fp_ieee_inexact 0
		.amdhsa_exception_int_div_zero 0
	.end_amdhsa_kernel
	.section	.text._ZN9rocsparseL16coo2dense_kernelILj512Ei21rocsparse_complex_numIfEEEvT0_S3_ll21rocsparse_index_base_PKT1_PKS3_S9_PS5_16rocsparse_order_,"axG",@progbits,_ZN9rocsparseL16coo2dense_kernelILj512Ei21rocsparse_complex_numIfEEEvT0_S3_ll21rocsparse_index_base_PKT1_PKS3_S9_PS5_16rocsparse_order_,comdat
.Lfunc_end4:
	.size	_ZN9rocsparseL16coo2dense_kernelILj512Ei21rocsparse_complex_numIfEEEvT0_S3_ll21rocsparse_index_base_PKT1_PKS3_S9_PS5_16rocsparse_order_, .Lfunc_end4-_ZN9rocsparseL16coo2dense_kernelILj512Ei21rocsparse_complex_numIfEEEvT0_S3_ll21rocsparse_index_base_PKT1_PKS3_S9_PS5_16rocsparse_order_
                                        ; -- End function
	.set _ZN9rocsparseL16coo2dense_kernelILj512Ei21rocsparse_complex_numIfEEEvT0_S3_ll21rocsparse_index_base_PKT1_PKS3_S9_PS5_16rocsparse_order_.num_vgpr, 8
	.set _ZN9rocsparseL16coo2dense_kernelILj512Ei21rocsparse_complex_numIfEEEvT0_S3_ll21rocsparse_index_base_PKT1_PKS3_S9_PS5_16rocsparse_order_.num_agpr, 0
	.set _ZN9rocsparseL16coo2dense_kernelILj512Ei21rocsparse_complex_numIfEEEvT0_S3_ll21rocsparse_index_base_PKT1_PKS3_S9_PS5_16rocsparse_order_.numbered_sgpr, 16
	.set _ZN9rocsparseL16coo2dense_kernelILj512Ei21rocsparse_complex_numIfEEEvT0_S3_ll21rocsparse_index_base_PKT1_PKS3_S9_PS5_16rocsparse_order_.num_named_barrier, 0
	.set _ZN9rocsparseL16coo2dense_kernelILj512Ei21rocsparse_complex_numIfEEEvT0_S3_ll21rocsparse_index_base_PKT1_PKS3_S9_PS5_16rocsparse_order_.private_seg_size, 0
	.set _ZN9rocsparseL16coo2dense_kernelILj512Ei21rocsparse_complex_numIfEEEvT0_S3_ll21rocsparse_index_base_PKT1_PKS3_S9_PS5_16rocsparse_order_.uses_vcc, 1
	.set _ZN9rocsparseL16coo2dense_kernelILj512Ei21rocsparse_complex_numIfEEEvT0_S3_ll21rocsparse_index_base_PKT1_PKS3_S9_PS5_16rocsparse_order_.uses_flat_scratch, 0
	.set _ZN9rocsparseL16coo2dense_kernelILj512Ei21rocsparse_complex_numIfEEEvT0_S3_ll21rocsparse_index_base_PKT1_PKS3_S9_PS5_16rocsparse_order_.has_dyn_sized_stack, 0
	.set _ZN9rocsparseL16coo2dense_kernelILj512Ei21rocsparse_complex_numIfEEEvT0_S3_ll21rocsparse_index_base_PKT1_PKS3_S9_PS5_16rocsparse_order_.has_recursion, 0
	.set _ZN9rocsparseL16coo2dense_kernelILj512Ei21rocsparse_complex_numIfEEEvT0_S3_ll21rocsparse_index_base_PKT1_PKS3_S9_PS5_16rocsparse_order_.has_indirect_call, 0
	.section	.AMDGPU.csdata,"",@progbits
; Kernel info:
; codeLenInByte = 296
; TotalNumSgprs: 18
; NumVgprs: 8
; ScratchSize: 0
; MemoryBound: 0
; FloatMode: 240
; IeeeMode: 1
; LDSByteSize: 0 bytes/workgroup (compile time only)
; SGPRBlocks: 0
; VGPRBlocks: 0
; NumSGPRsForWavesPerEU: 18
; NumVGPRsForWavesPerEU: 8
; Occupancy: 16
; WaveLimiterHint : 1
; COMPUTE_PGM_RSRC2:SCRATCH_EN: 0
; COMPUTE_PGM_RSRC2:USER_SGPR: 6
; COMPUTE_PGM_RSRC2:TRAP_HANDLER: 0
; COMPUTE_PGM_RSRC2:TGID_X_EN: 1
; COMPUTE_PGM_RSRC2:TGID_Y_EN: 0
; COMPUTE_PGM_RSRC2:TGID_Z_EN: 0
; COMPUTE_PGM_RSRC2:TIDIG_COMP_CNT: 0
	.section	.text._ZN9rocsparseL16coo2dense_kernelILj512Ei21rocsparse_complex_numIdEEEvT0_S3_ll21rocsparse_index_base_PKT1_PKS3_S9_PS5_16rocsparse_order_,"axG",@progbits,_ZN9rocsparseL16coo2dense_kernelILj512Ei21rocsparse_complex_numIdEEEvT0_S3_ll21rocsparse_index_base_PKT1_PKS3_S9_PS5_16rocsparse_order_,comdat
	.globl	_ZN9rocsparseL16coo2dense_kernelILj512Ei21rocsparse_complex_numIdEEEvT0_S3_ll21rocsparse_index_base_PKT1_PKS3_S9_PS5_16rocsparse_order_ ; -- Begin function _ZN9rocsparseL16coo2dense_kernelILj512Ei21rocsparse_complex_numIdEEEvT0_S3_ll21rocsparse_index_base_PKT1_PKS3_S9_PS5_16rocsparse_order_
	.p2align	8
	.type	_ZN9rocsparseL16coo2dense_kernelILj512Ei21rocsparse_complex_numIdEEEvT0_S3_ll21rocsparse_index_base_PKT1_PKS3_S9_PS5_16rocsparse_order_,@function
_ZN9rocsparseL16coo2dense_kernelILj512Ei21rocsparse_complex_numIdEEEvT0_S3_ll21rocsparse_index_base_PKT1_PKS3_S9_PS5_16rocsparse_order_: ; @_ZN9rocsparseL16coo2dense_kernelILj512Ei21rocsparse_complex_numIdEEEvT0_S3_ll21rocsparse_index_base_PKT1_PKS3_S9_PS5_16rocsparse_order_
; %bb.0:
	s_load_dwordx4 s[0:3], s[4:5], 0x8
	v_lshl_or_b32 v0, s6, 9, v0
	v_mov_b32_e32 v1, 0
	s_waitcnt lgkmcnt(0)
	v_cmp_gt_i64_e32 vcc_lo, s[0:1], v[0:1]
	s_and_saveexec_b32 s0, vcc_lo
	s_cbranch_execz .LBB5_2
; %bb.1:
	s_load_dwordx8 s[8:15], s[4:5], 0x20
	v_lshlrev_b64 v[2:3], 2, v[0:1]
	v_lshlrev_b64 v[0:1], 4, v[0:1]
	s_waitcnt lgkmcnt(0)
	v_add_co_u32 v4, vcc_lo, s10, v2
	v_add_co_ci_u32_e64 v5, null, s11, v3, vcc_lo
	v_add_co_u32 v2, vcc_lo, s12, v2
	v_add_co_ci_u32_e64 v3, null, s13, v3, vcc_lo
	global_load_dword v4, v[4:5], off
	global_load_dword v5, v[2:3], off
	v_add_co_u32 v0, vcc_lo, s8, v0
	v_add_co_ci_u32_e64 v1, null, s9, v1, vcc_lo
	global_load_dwordx4 v[0:3], v[0:1], off
	s_clause 0x1
	s_load_dword s0, s[4:5], 0x18
	s_load_dword s1, s[4:5], 0x40
	s_waitcnt lgkmcnt(0)
	s_cmp_eq_u32 s1, 1
	s_cselect_b32 vcc_lo, -1, 0
	s_waitcnt vmcnt(2)
	v_subrev_nc_u32_e32 v6, s0, v4
	s_waitcnt vmcnt(1)
	v_subrev_nc_u32_e32 v7, s0, v5
	v_cndmask_b32_e32 v4, v6, v7, vcc_lo
	v_cndmask_b32_e32 v6, v7, v6, vcc_lo
	v_ashrrev_i32_e32 v8, 31, v4
	v_mul_lo_u32 v9, s3, v4
	v_mad_u64_u32 v[4:5], null, s2, v4, 0
	v_ashrrev_i32_e32 v7, 31, v6
	v_mul_lo_u32 v8, s2, v8
	v_lshlrev_b64 v[6:7], 4, v[6:7]
	v_add3_u32 v5, v5, v8, v9
	v_lshlrev_b64 v[4:5], 4, v[4:5]
	v_add_co_u32 v4, vcc_lo, s14, v4
	v_add_co_ci_u32_e64 v5, null, s15, v5, vcc_lo
	v_add_co_u32 v4, vcc_lo, v4, v6
	v_add_co_ci_u32_e64 v5, null, v5, v7, vcc_lo
	s_waitcnt vmcnt(0)
	global_store_dwordx4 v[4:5], v[0:3], off
.LBB5_2:
	s_endpgm
	.section	.rodata,"a",@progbits
	.p2align	6, 0x0
	.amdhsa_kernel _ZN9rocsparseL16coo2dense_kernelILj512Ei21rocsparse_complex_numIdEEEvT0_S3_ll21rocsparse_index_base_PKT1_PKS3_S9_PS5_16rocsparse_order_
		.amdhsa_group_segment_fixed_size 0
		.amdhsa_private_segment_fixed_size 0
		.amdhsa_kernarg_size 68
		.amdhsa_user_sgpr_count 6
		.amdhsa_user_sgpr_private_segment_buffer 1
		.amdhsa_user_sgpr_dispatch_ptr 0
		.amdhsa_user_sgpr_queue_ptr 0
		.amdhsa_user_sgpr_kernarg_segment_ptr 1
		.amdhsa_user_sgpr_dispatch_id 0
		.amdhsa_user_sgpr_flat_scratch_init 0
		.amdhsa_user_sgpr_private_segment_size 0
		.amdhsa_wavefront_size32 1
		.amdhsa_uses_dynamic_stack 0
		.amdhsa_system_sgpr_private_segment_wavefront_offset 0
		.amdhsa_system_sgpr_workgroup_id_x 1
		.amdhsa_system_sgpr_workgroup_id_y 0
		.amdhsa_system_sgpr_workgroup_id_z 0
		.amdhsa_system_sgpr_workgroup_info 0
		.amdhsa_system_vgpr_workitem_id 0
		.amdhsa_next_free_vgpr 10
		.amdhsa_next_free_sgpr 16
		.amdhsa_reserve_vcc 1
		.amdhsa_reserve_flat_scratch 0
		.amdhsa_float_round_mode_32 0
		.amdhsa_float_round_mode_16_64 0
		.amdhsa_float_denorm_mode_32 3
		.amdhsa_float_denorm_mode_16_64 3
		.amdhsa_dx10_clamp 1
		.amdhsa_ieee_mode 1
		.amdhsa_fp16_overflow 0
		.amdhsa_workgroup_processor_mode 1
		.amdhsa_memory_ordered 1
		.amdhsa_forward_progress 1
		.amdhsa_shared_vgpr_count 0
		.amdhsa_exception_fp_ieee_invalid_op 0
		.amdhsa_exception_fp_denorm_src 0
		.amdhsa_exception_fp_ieee_div_zero 0
		.amdhsa_exception_fp_ieee_overflow 0
		.amdhsa_exception_fp_ieee_underflow 0
		.amdhsa_exception_fp_ieee_inexact 0
		.amdhsa_exception_int_div_zero 0
	.end_amdhsa_kernel
	.section	.text._ZN9rocsparseL16coo2dense_kernelILj512Ei21rocsparse_complex_numIdEEEvT0_S3_ll21rocsparse_index_base_PKT1_PKS3_S9_PS5_16rocsparse_order_,"axG",@progbits,_ZN9rocsparseL16coo2dense_kernelILj512Ei21rocsparse_complex_numIdEEEvT0_S3_ll21rocsparse_index_base_PKT1_PKS3_S9_PS5_16rocsparse_order_,comdat
.Lfunc_end5:
	.size	_ZN9rocsparseL16coo2dense_kernelILj512Ei21rocsparse_complex_numIdEEEvT0_S3_ll21rocsparse_index_base_PKT1_PKS3_S9_PS5_16rocsparse_order_, .Lfunc_end5-_ZN9rocsparseL16coo2dense_kernelILj512Ei21rocsparse_complex_numIdEEEvT0_S3_ll21rocsparse_index_base_PKT1_PKS3_S9_PS5_16rocsparse_order_
                                        ; -- End function
	.set _ZN9rocsparseL16coo2dense_kernelILj512Ei21rocsparse_complex_numIdEEEvT0_S3_ll21rocsparse_index_base_PKT1_PKS3_S9_PS5_16rocsparse_order_.num_vgpr, 10
	.set _ZN9rocsparseL16coo2dense_kernelILj512Ei21rocsparse_complex_numIdEEEvT0_S3_ll21rocsparse_index_base_PKT1_PKS3_S9_PS5_16rocsparse_order_.num_agpr, 0
	.set _ZN9rocsparseL16coo2dense_kernelILj512Ei21rocsparse_complex_numIdEEEvT0_S3_ll21rocsparse_index_base_PKT1_PKS3_S9_PS5_16rocsparse_order_.numbered_sgpr, 16
	.set _ZN9rocsparseL16coo2dense_kernelILj512Ei21rocsparse_complex_numIdEEEvT0_S3_ll21rocsparse_index_base_PKT1_PKS3_S9_PS5_16rocsparse_order_.num_named_barrier, 0
	.set _ZN9rocsparseL16coo2dense_kernelILj512Ei21rocsparse_complex_numIdEEEvT0_S3_ll21rocsparse_index_base_PKT1_PKS3_S9_PS5_16rocsparse_order_.private_seg_size, 0
	.set _ZN9rocsparseL16coo2dense_kernelILj512Ei21rocsparse_complex_numIdEEEvT0_S3_ll21rocsparse_index_base_PKT1_PKS3_S9_PS5_16rocsparse_order_.uses_vcc, 1
	.set _ZN9rocsparseL16coo2dense_kernelILj512Ei21rocsparse_complex_numIdEEEvT0_S3_ll21rocsparse_index_base_PKT1_PKS3_S9_PS5_16rocsparse_order_.uses_flat_scratch, 0
	.set _ZN9rocsparseL16coo2dense_kernelILj512Ei21rocsparse_complex_numIdEEEvT0_S3_ll21rocsparse_index_base_PKT1_PKS3_S9_PS5_16rocsparse_order_.has_dyn_sized_stack, 0
	.set _ZN9rocsparseL16coo2dense_kernelILj512Ei21rocsparse_complex_numIdEEEvT0_S3_ll21rocsparse_index_base_PKT1_PKS3_S9_PS5_16rocsparse_order_.has_recursion, 0
	.set _ZN9rocsparseL16coo2dense_kernelILj512Ei21rocsparse_complex_numIdEEEvT0_S3_ll21rocsparse_index_base_PKT1_PKS3_S9_PS5_16rocsparse_order_.has_indirect_call, 0
	.section	.AMDGPU.csdata,"",@progbits
; Kernel info:
; codeLenInByte = 296
; TotalNumSgprs: 18
; NumVgprs: 10
; ScratchSize: 0
; MemoryBound: 0
; FloatMode: 240
; IeeeMode: 1
; LDSByteSize: 0 bytes/workgroup (compile time only)
; SGPRBlocks: 0
; VGPRBlocks: 1
; NumSGPRsForWavesPerEU: 18
; NumVGPRsForWavesPerEU: 10
; Occupancy: 16
; WaveLimiterHint : 1
; COMPUTE_PGM_RSRC2:SCRATCH_EN: 0
; COMPUTE_PGM_RSRC2:USER_SGPR: 6
; COMPUTE_PGM_RSRC2:TRAP_HANDLER: 0
; COMPUTE_PGM_RSRC2:TGID_X_EN: 1
; COMPUTE_PGM_RSRC2:TGID_Y_EN: 0
; COMPUTE_PGM_RSRC2:TGID_Z_EN: 0
; COMPUTE_PGM_RSRC2:TIDIG_COMP_CNT: 0
	.section	.text._ZN9rocsparseL16coo2dense_kernelILj512ElDF16_EEvT0_S1_ll21rocsparse_index_base_PKT1_PKS1_S7_PS3_16rocsparse_order_,"axG",@progbits,_ZN9rocsparseL16coo2dense_kernelILj512ElDF16_EEvT0_S1_ll21rocsparse_index_base_PKT1_PKS1_S7_PS3_16rocsparse_order_,comdat
	.globl	_ZN9rocsparseL16coo2dense_kernelILj512ElDF16_EEvT0_S1_ll21rocsparse_index_base_PKT1_PKS1_S7_PS3_16rocsparse_order_ ; -- Begin function _ZN9rocsparseL16coo2dense_kernelILj512ElDF16_EEvT0_S1_ll21rocsparse_index_base_PKT1_PKS1_S7_PS3_16rocsparse_order_
	.p2align	8
	.type	_ZN9rocsparseL16coo2dense_kernelILj512ElDF16_EEvT0_S1_ll21rocsparse_index_base_PKT1_PKS1_S7_PS3_16rocsparse_order_,@function
_ZN9rocsparseL16coo2dense_kernelILj512ElDF16_EEvT0_S1_ll21rocsparse_index_base_PKT1_PKS1_S7_PS3_16rocsparse_order_: ; @_ZN9rocsparseL16coo2dense_kernelILj512ElDF16_EEvT0_S1_ll21rocsparse_index_base_PKT1_PKS1_S7_PS3_16rocsparse_order_
; %bb.0:
	s_load_dwordx4 s[0:3], s[4:5], 0x10
	v_lshl_or_b32 v0, s6, 9, v0
	v_mov_b32_e32 v1, 0
	s_waitcnt lgkmcnt(0)
	v_cmp_gt_i64_e32 vcc_lo, s[0:1], v[0:1]
	s_and_saveexec_b32 s0, vcc_lo
	s_cbranch_execz .LBB6_2
; %bb.1:
	s_load_dwordx8 s[8:15], s[4:5], 0x28
	v_lshlrev_b64 v[2:3], 3, v[0:1]
	v_lshlrev_b64 v[0:1], 1, v[0:1]
	s_waitcnt lgkmcnt(0)
	v_add_co_u32 v4, vcc_lo, s10, v2
	v_add_co_ci_u32_e64 v5, null, s11, v3, vcc_lo
	v_add_co_u32 v2, vcc_lo, s12, v2
	v_add_co_ci_u32_e64 v3, null, s13, v3, vcc_lo
	global_load_dwordx2 v[4:5], v[4:5], off
	global_load_dwordx2 v[2:3], v[2:3], off
	v_add_co_u32 v0, vcc_lo, s8, v0
	v_add_co_ci_u32_e64 v1, null, s9, v1, vcc_lo
	global_load_ushort v6, v[0:1], off
	s_clause 0x1
	s_load_dword s0, s[4:5], 0x20
	s_load_dword s1, s[4:5], 0x48
	s_waitcnt lgkmcnt(0)
	s_cmp_eq_u32 s1, 1
	s_waitcnt vmcnt(2)
	v_sub_co_u32 v4, vcc_lo, v4, s0
	v_subrev_co_ci_u32_e64 v5, null, 0, v5, vcc_lo
	s_waitcnt vmcnt(1)
	v_sub_co_u32 v2, vcc_lo, v2, s0
	v_subrev_co_ci_u32_e64 v3, null, 0, v3, vcc_lo
	s_cselect_b32 vcc_lo, -1, 0
	v_cndmask_b32_e32 v0, v4, v2, vcc_lo
	v_cndmask_b32_e32 v1, v5, v3, vcc_lo
	;; [unrolled: 1-line block ×4, first 2 shown]
	v_mul_lo_u32 v8, v0, s3
	v_mul_lo_u32 v7, v1, s2
	v_mad_u64_u32 v[0:1], null, v0, s2, 0
	v_lshlrev_b64 v[2:3], 1, v[2:3]
	v_add3_u32 v1, v1, v8, v7
	v_lshlrev_b64 v[0:1], 1, v[0:1]
	v_add_co_u32 v0, vcc_lo, s14, v0
	v_add_co_ci_u32_e64 v1, null, s15, v1, vcc_lo
	v_add_co_u32 v0, vcc_lo, v0, v2
	v_add_co_ci_u32_e64 v1, null, v1, v3, vcc_lo
	s_waitcnt vmcnt(0)
	global_store_short v[0:1], v6, off
.LBB6_2:
	s_endpgm
	.section	.rodata,"a",@progbits
	.p2align	6, 0x0
	.amdhsa_kernel _ZN9rocsparseL16coo2dense_kernelILj512ElDF16_EEvT0_S1_ll21rocsparse_index_base_PKT1_PKS1_S7_PS3_16rocsparse_order_
		.amdhsa_group_segment_fixed_size 0
		.amdhsa_private_segment_fixed_size 0
		.amdhsa_kernarg_size 76
		.amdhsa_user_sgpr_count 6
		.amdhsa_user_sgpr_private_segment_buffer 1
		.amdhsa_user_sgpr_dispatch_ptr 0
		.amdhsa_user_sgpr_queue_ptr 0
		.amdhsa_user_sgpr_kernarg_segment_ptr 1
		.amdhsa_user_sgpr_dispatch_id 0
		.amdhsa_user_sgpr_flat_scratch_init 0
		.amdhsa_user_sgpr_private_segment_size 0
		.amdhsa_wavefront_size32 1
		.amdhsa_uses_dynamic_stack 0
		.amdhsa_system_sgpr_private_segment_wavefront_offset 0
		.amdhsa_system_sgpr_workgroup_id_x 1
		.amdhsa_system_sgpr_workgroup_id_y 0
		.amdhsa_system_sgpr_workgroup_id_z 0
		.amdhsa_system_sgpr_workgroup_info 0
		.amdhsa_system_vgpr_workitem_id 0
		.amdhsa_next_free_vgpr 9
		.amdhsa_next_free_sgpr 16
		.amdhsa_reserve_vcc 1
		.amdhsa_reserve_flat_scratch 0
		.amdhsa_float_round_mode_32 0
		.amdhsa_float_round_mode_16_64 0
		.amdhsa_float_denorm_mode_32 3
		.amdhsa_float_denorm_mode_16_64 3
		.amdhsa_dx10_clamp 1
		.amdhsa_ieee_mode 1
		.amdhsa_fp16_overflow 0
		.amdhsa_workgroup_processor_mode 1
		.amdhsa_memory_ordered 1
		.amdhsa_forward_progress 1
		.amdhsa_shared_vgpr_count 0
		.amdhsa_exception_fp_ieee_invalid_op 0
		.amdhsa_exception_fp_denorm_src 0
		.amdhsa_exception_fp_ieee_div_zero 0
		.amdhsa_exception_fp_ieee_overflow 0
		.amdhsa_exception_fp_ieee_underflow 0
		.amdhsa_exception_fp_ieee_inexact 0
		.amdhsa_exception_int_div_zero 0
	.end_amdhsa_kernel
	.section	.text._ZN9rocsparseL16coo2dense_kernelILj512ElDF16_EEvT0_S1_ll21rocsparse_index_base_PKT1_PKS1_S7_PS3_16rocsparse_order_,"axG",@progbits,_ZN9rocsparseL16coo2dense_kernelILj512ElDF16_EEvT0_S1_ll21rocsparse_index_base_PKT1_PKS1_S7_PS3_16rocsparse_order_,comdat
.Lfunc_end6:
	.size	_ZN9rocsparseL16coo2dense_kernelILj512ElDF16_EEvT0_S1_ll21rocsparse_index_base_PKT1_PKS1_S7_PS3_16rocsparse_order_, .Lfunc_end6-_ZN9rocsparseL16coo2dense_kernelILj512ElDF16_EEvT0_S1_ll21rocsparse_index_base_PKT1_PKS1_S7_PS3_16rocsparse_order_
                                        ; -- End function
	.set _ZN9rocsparseL16coo2dense_kernelILj512ElDF16_EEvT0_S1_ll21rocsparse_index_base_PKT1_PKS1_S7_PS3_16rocsparse_order_.num_vgpr, 9
	.set _ZN9rocsparseL16coo2dense_kernelILj512ElDF16_EEvT0_S1_ll21rocsparse_index_base_PKT1_PKS1_S7_PS3_16rocsparse_order_.num_agpr, 0
	.set _ZN9rocsparseL16coo2dense_kernelILj512ElDF16_EEvT0_S1_ll21rocsparse_index_base_PKT1_PKS1_S7_PS3_16rocsparse_order_.numbered_sgpr, 16
	.set _ZN9rocsparseL16coo2dense_kernelILj512ElDF16_EEvT0_S1_ll21rocsparse_index_base_PKT1_PKS1_S7_PS3_16rocsparse_order_.num_named_barrier, 0
	.set _ZN9rocsparseL16coo2dense_kernelILj512ElDF16_EEvT0_S1_ll21rocsparse_index_base_PKT1_PKS1_S7_PS3_16rocsparse_order_.private_seg_size, 0
	.set _ZN9rocsparseL16coo2dense_kernelILj512ElDF16_EEvT0_S1_ll21rocsparse_index_base_PKT1_PKS1_S7_PS3_16rocsparse_order_.uses_vcc, 1
	.set _ZN9rocsparseL16coo2dense_kernelILj512ElDF16_EEvT0_S1_ll21rocsparse_index_base_PKT1_PKS1_S7_PS3_16rocsparse_order_.uses_flat_scratch, 0
	.set _ZN9rocsparseL16coo2dense_kernelILj512ElDF16_EEvT0_S1_ll21rocsparse_index_base_PKT1_PKS1_S7_PS3_16rocsparse_order_.has_dyn_sized_stack, 0
	.set _ZN9rocsparseL16coo2dense_kernelILj512ElDF16_EEvT0_S1_ll21rocsparse_index_base_PKT1_PKS1_S7_PS3_16rocsparse_order_.has_recursion, 0
	.set _ZN9rocsparseL16coo2dense_kernelILj512ElDF16_EEvT0_S1_ll21rocsparse_index_base_PKT1_PKS1_S7_PS3_16rocsparse_order_.has_indirect_call, 0
	.section	.AMDGPU.csdata,"",@progbits
; Kernel info:
; codeLenInByte = 320
; TotalNumSgprs: 18
; NumVgprs: 9
; ScratchSize: 0
; MemoryBound: 0
; FloatMode: 240
; IeeeMode: 1
; LDSByteSize: 0 bytes/workgroup (compile time only)
; SGPRBlocks: 0
; VGPRBlocks: 1
; NumSGPRsForWavesPerEU: 18
; NumVGPRsForWavesPerEU: 9
; Occupancy: 16
; WaveLimiterHint : 1
; COMPUTE_PGM_RSRC2:SCRATCH_EN: 0
; COMPUTE_PGM_RSRC2:USER_SGPR: 6
; COMPUTE_PGM_RSRC2:TRAP_HANDLER: 0
; COMPUTE_PGM_RSRC2:TGID_X_EN: 1
; COMPUTE_PGM_RSRC2:TGID_Y_EN: 0
; COMPUTE_PGM_RSRC2:TGID_Z_EN: 0
; COMPUTE_PGM_RSRC2:TIDIG_COMP_CNT: 0
	.section	.text._ZN9rocsparseL16coo2dense_kernelILj512El18rocsparse_bfloat16EEvT0_S2_ll21rocsparse_index_base_PKT1_PKS2_S8_PS4_16rocsparse_order_,"axG",@progbits,_ZN9rocsparseL16coo2dense_kernelILj512El18rocsparse_bfloat16EEvT0_S2_ll21rocsparse_index_base_PKT1_PKS2_S8_PS4_16rocsparse_order_,comdat
	.globl	_ZN9rocsparseL16coo2dense_kernelILj512El18rocsparse_bfloat16EEvT0_S2_ll21rocsparse_index_base_PKT1_PKS2_S8_PS4_16rocsparse_order_ ; -- Begin function _ZN9rocsparseL16coo2dense_kernelILj512El18rocsparse_bfloat16EEvT0_S2_ll21rocsparse_index_base_PKT1_PKS2_S8_PS4_16rocsparse_order_
	.p2align	8
	.type	_ZN9rocsparseL16coo2dense_kernelILj512El18rocsparse_bfloat16EEvT0_S2_ll21rocsparse_index_base_PKT1_PKS2_S8_PS4_16rocsparse_order_,@function
_ZN9rocsparseL16coo2dense_kernelILj512El18rocsparse_bfloat16EEvT0_S2_ll21rocsparse_index_base_PKT1_PKS2_S8_PS4_16rocsparse_order_: ; @_ZN9rocsparseL16coo2dense_kernelILj512El18rocsparse_bfloat16EEvT0_S2_ll21rocsparse_index_base_PKT1_PKS2_S8_PS4_16rocsparse_order_
; %bb.0:
	s_load_dwordx4 s[0:3], s[4:5], 0x10
	v_lshl_or_b32 v0, s6, 9, v0
	v_mov_b32_e32 v1, 0
	s_waitcnt lgkmcnt(0)
	v_cmp_gt_i64_e32 vcc_lo, s[0:1], v[0:1]
	s_and_saveexec_b32 s0, vcc_lo
	s_cbranch_execz .LBB7_2
; %bb.1:
	s_load_dwordx8 s[8:15], s[4:5], 0x28
	v_lshlrev_b64 v[2:3], 3, v[0:1]
	v_lshlrev_b64 v[0:1], 1, v[0:1]
	s_waitcnt lgkmcnt(0)
	v_add_co_u32 v4, vcc_lo, s10, v2
	v_add_co_ci_u32_e64 v5, null, s11, v3, vcc_lo
	v_add_co_u32 v2, vcc_lo, s12, v2
	v_add_co_ci_u32_e64 v3, null, s13, v3, vcc_lo
	global_load_dwordx2 v[4:5], v[4:5], off
	global_load_dwordx2 v[2:3], v[2:3], off
	v_add_co_u32 v0, vcc_lo, s8, v0
	v_add_co_ci_u32_e64 v1, null, s9, v1, vcc_lo
	global_load_ushort v6, v[0:1], off
	s_clause 0x1
	s_load_dword s0, s[4:5], 0x20
	s_load_dword s1, s[4:5], 0x48
	s_waitcnt lgkmcnt(0)
	s_cmp_eq_u32 s1, 1
	s_waitcnt vmcnt(2)
	v_sub_co_u32 v4, vcc_lo, v4, s0
	v_subrev_co_ci_u32_e64 v5, null, 0, v5, vcc_lo
	s_waitcnt vmcnt(1)
	v_sub_co_u32 v2, vcc_lo, v2, s0
	v_subrev_co_ci_u32_e64 v3, null, 0, v3, vcc_lo
	s_cselect_b32 vcc_lo, -1, 0
	v_cndmask_b32_e32 v0, v4, v2, vcc_lo
	v_cndmask_b32_e32 v1, v5, v3, vcc_lo
	;; [unrolled: 1-line block ×4, first 2 shown]
	v_mul_lo_u32 v8, v0, s3
	v_mul_lo_u32 v7, v1, s2
	v_mad_u64_u32 v[0:1], null, v0, s2, 0
	v_lshlrev_b64 v[2:3], 1, v[2:3]
	v_add3_u32 v1, v1, v8, v7
	v_lshlrev_b64 v[0:1], 1, v[0:1]
	v_add_co_u32 v0, vcc_lo, s14, v0
	v_add_co_ci_u32_e64 v1, null, s15, v1, vcc_lo
	v_add_co_u32 v0, vcc_lo, v0, v2
	v_add_co_ci_u32_e64 v1, null, v1, v3, vcc_lo
	s_waitcnt vmcnt(0)
	global_store_short v[0:1], v6, off
.LBB7_2:
	s_endpgm
	.section	.rodata,"a",@progbits
	.p2align	6, 0x0
	.amdhsa_kernel _ZN9rocsparseL16coo2dense_kernelILj512El18rocsparse_bfloat16EEvT0_S2_ll21rocsparse_index_base_PKT1_PKS2_S8_PS4_16rocsparse_order_
		.amdhsa_group_segment_fixed_size 0
		.amdhsa_private_segment_fixed_size 0
		.amdhsa_kernarg_size 76
		.amdhsa_user_sgpr_count 6
		.amdhsa_user_sgpr_private_segment_buffer 1
		.amdhsa_user_sgpr_dispatch_ptr 0
		.amdhsa_user_sgpr_queue_ptr 0
		.amdhsa_user_sgpr_kernarg_segment_ptr 1
		.amdhsa_user_sgpr_dispatch_id 0
		.amdhsa_user_sgpr_flat_scratch_init 0
		.amdhsa_user_sgpr_private_segment_size 0
		.amdhsa_wavefront_size32 1
		.amdhsa_uses_dynamic_stack 0
		.amdhsa_system_sgpr_private_segment_wavefront_offset 0
		.amdhsa_system_sgpr_workgroup_id_x 1
		.amdhsa_system_sgpr_workgroup_id_y 0
		.amdhsa_system_sgpr_workgroup_id_z 0
		.amdhsa_system_sgpr_workgroup_info 0
		.amdhsa_system_vgpr_workitem_id 0
		.amdhsa_next_free_vgpr 9
		.amdhsa_next_free_sgpr 16
		.amdhsa_reserve_vcc 1
		.amdhsa_reserve_flat_scratch 0
		.amdhsa_float_round_mode_32 0
		.amdhsa_float_round_mode_16_64 0
		.amdhsa_float_denorm_mode_32 3
		.amdhsa_float_denorm_mode_16_64 3
		.amdhsa_dx10_clamp 1
		.amdhsa_ieee_mode 1
		.amdhsa_fp16_overflow 0
		.amdhsa_workgroup_processor_mode 1
		.amdhsa_memory_ordered 1
		.amdhsa_forward_progress 1
		.amdhsa_shared_vgpr_count 0
		.amdhsa_exception_fp_ieee_invalid_op 0
		.amdhsa_exception_fp_denorm_src 0
		.amdhsa_exception_fp_ieee_div_zero 0
		.amdhsa_exception_fp_ieee_overflow 0
		.amdhsa_exception_fp_ieee_underflow 0
		.amdhsa_exception_fp_ieee_inexact 0
		.amdhsa_exception_int_div_zero 0
	.end_amdhsa_kernel
	.section	.text._ZN9rocsparseL16coo2dense_kernelILj512El18rocsparse_bfloat16EEvT0_S2_ll21rocsparse_index_base_PKT1_PKS2_S8_PS4_16rocsparse_order_,"axG",@progbits,_ZN9rocsparseL16coo2dense_kernelILj512El18rocsparse_bfloat16EEvT0_S2_ll21rocsparse_index_base_PKT1_PKS2_S8_PS4_16rocsparse_order_,comdat
.Lfunc_end7:
	.size	_ZN9rocsparseL16coo2dense_kernelILj512El18rocsparse_bfloat16EEvT0_S2_ll21rocsparse_index_base_PKT1_PKS2_S8_PS4_16rocsparse_order_, .Lfunc_end7-_ZN9rocsparseL16coo2dense_kernelILj512El18rocsparse_bfloat16EEvT0_S2_ll21rocsparse_index_base_PKT1_PKS2_S8_PS4_16rocsparse_order_
                                        ; -- End function
	.set _ZN9rocsparseL16coo2dense_kernelILj512El18rocsparse_bfloat16EEvT0_S2_ll21rocsparse_index_base_PKT1_PKS2_S8_PS4_16rocsparse_order_.num_vgpr, 9
	.set _ZN9rocsparseL16coo2dense_kernelILj512El18rocsparse_bfloat16EEvT0_S2_ll21rocsparse_index_base_PKT1_PKS2_S8_PS4_16rocsparse_order_.num_agpr, 0
	.set _ZN9rocsparseL16coo2dense_kernelILj512El18rocsparse_bfloat16EEvT0_S2_ll21rocsparse_index_base_PKT1_PKS2_S8_PS4_16rocsparse_order_.numbered_sgpr, 16
	.set _ZN9rocsparseL16coo2dense_kernelILj512El18rocsparse_bfloat16EEvT0_S2_ll21rocsparse_index_base_PKT1_PKS2_S8_PS4_16rocsparse_order_.num_named_barrier, 0
	.set _ZN9rocsparseL16coo2dense_kernelILj512El18rocsparse_bfloat16EEvT0_S2_ll21rocsparse_index_base_PKT1_PKS2_S8_PS4_16rocsparse_order_.private_seg_size, 0
	.set _ZN9rocsparseL16coo2dense_kernelILj512El18rocsparse_bfloat16EEvT0_S2_ll21rocsparse_index_base_PKT1_PKS2_S8_PS4_16rocsparse_order_.uses_vcc, 1
	.set _ZN9rocsparseL16coo2dense_kernelILj512El18rocsparse_bfloat16EEvT0_S2_ll21rocsparse_index_base_PKT1_PKS2_S8_PS4_16rocsparse_order_.uses_flat_scratch, 0
	.set _ZN9rocsparseL16coo2dense_kernelILj512El18rocsparse_bfloat16EEvT0_S2_ll21rocsparse_index_base_PKT1_PKS2_S8_PS4_16rocsparse_order_.has_dyn_sized_stack, 0
	.set _ZN9rocsparseL16coo2dense_kernelILj512El18rocsparse_bfloat16EEvT0_S2_ll21rocsparse_index_base_PKT1_PKS2_S8_PS4_16rocsparse_order_.has_recursion, 0
	.set _ZN9rocsparseL16coo2dense_kernelILj512El18rocsparse_bfloat16EEvT0_S2_ll21rocsparse_index_base_PKT1_PKS2_S8_PS4_16rocsparse_order_.has_indirect_call, 0
	.section	.AMDGPU.csdata,"",@progbits
; Kernel info:
; codeLenInByte = 320
; TotalNumSgprs: 18
; NumVgprs: 9
; ScratchSize: 0
; MemoryBound: 0
; FloatMode: 240
; IeeeMode: 1
; LDSByteSize: 0 bytes/workgroup (compile time only)
; SGPRBlocks: 0
; VGPRBlocks: 1
; NumSGPRsForWavesPerEU: 18
; NumVGPRsForWavesPerEU: 9
; Occupancy: 16
; WaveLimiterHint : 1
; COMPUTE_PGM_RSRC2:SCRATCH_EN: 0
; COMPUTE_PGM_RSRC2:USER_SGPR: 6
; COMPUTE_PGM_RSRC2:TRAP_HANDLER: 0
; COMPUTE_PGM_RSRC2:TGID_X_EN: 1
; COMPUTE_PGM_RSRC2:TGID_Y_EN: 0
; COMPUTE_PGM_RSRC2:TGID_Z_EN: 0
; COMPUTE_PGM_RSRC2:TIDIG_COMP_CNT: 0
	.section	.text._ZN9rocsparseL16coo2dense_kernelILj512ElfEEvT0_S1_ll21rocsparse_index_base_PKT1_PKS1_S7_PS3_16rocsparse_order_,"axG",@progbits,_ZN9rocsparseL16coo2dense_kernelILj512ElfEEvT0_S1_ll21rocsparse_index_base_PKT1_PKS1_S7_PS3_16rocsparse_order_,comdat
	.globl	_ZN9rocsparseL16coo2dense_kernelILj512ElfEEvT0_S1_ll21rocsparse_index_base_PKT1_PKS1_S7_PS3_16rocsparse_order_ ; -- Begin function _ZN9rocsparseL16coo2dense_kernelILj512ElfEEvT0_S1_ll21rocsparse_index_base_PKT1_PKS1_S7_PS3_16rocsparse_order_
	.p2align	8
	.type	_ZN9rocsparseL16coo2dense_kernelILj512ElfEEvT0_S1_ll21rocsparse_index_base_PKT1_PKS1_S7_PS3_16rocsparse_order_,@function
_ZN9rocsparseL16coo2dense_kernelILj512ElfEEvT0_S1_ll21rocsparse_index_base_PKT1_PKS1_S7_PS3_16rocsparse_order_: ; @_ZN9rocsparseL16coo2dense_kernelILj512ElfEEvT0_S1_ll21rocsparse_index_base_PKT1_PKS1_S7_PS3_16rocsparse_order_
; %bb.0:
	s_load_dwordx4 s[0:3], s[4:5], 0x10
	v_lshl_or_b32 v0, s6, 9, v0
	v_mov_b32_e32 v1, 0
	s_waitcnt lgkmcnt(0)
	v_cmp_gt_i64_e32 vcc_lo, s[0:1], v[0:1]
	s_and_saveexec_b32 s0, vcc_lo
	s_cbranch_execz .LBB8_2
; %bb.1:
	s_load_dwordx8 s[8:15], s[4:5], 0x28
	v_lshlrev_b64 v[2:3], 3, v[0:1]
	v_lshlrev_b64 v[0:1], 2, v[0:1]
	s_waitcnt lgkmcnt(0)
	v_add_co_u32 v4, vcc_lo, s10, v2
	v_add_co_ci_u32_e64 v5, null, s11, v3, vcc_lo
	v_add_co_u32 v2, vcc_lo, s12, v2
	v_add_co_ci_u32_e64 v3, null, s13, v3, vcc_lo
	global_load_dwordx2 v[4:5], v[4:5], off
	global_load_dwordx2 v[2:3], v[2:3], off
	v_add_co_u32 v0, vcc_lo, s8, v0
	v_add_co_ci_u32_e64 v1, null, s9, v1, vcc_lo
	global_load_dword v6, v[0:1], off
	s_clause 0x1
	s_load_dword s0, s[4:5], 0x20
	s_load_dword s1, s[4:5], 0x48
	s_waitcnt lgkmcnt(0)
	s_cmp_eq_u32 s1, 1
	s_waitcnt vmcnt(2)
	v_sub_co_u32 v4, vcc_lo, v4, s0
	v_subrev_co_ci_u32_e64 v5, null, 0, v5, vcc_lo
	s_waitcnt vmcnt(1)
	v_sub_co_u32 v2, vcc_lo, v2, s0
	v_subrev_co_ci_u32_e64 v3, null, 0, v3, vcc_lo
	s_cselect_b32 vcc_lo, -1, 0
	v_cndmask_b32_e32 v0, v4, v2, vcc_lo
	v_cndmask_b32_e32 v1, v5, v3, vcc_lo
	;; [unrolled: 1-line block ×4, first 2 shown]
	v_mul_lo_u32 v8, v0, s3
	v_mul_lo_u32 v7, v1, s2
	v_mad_u64_u32 v[0:1], null, v0, s2, 0
	v_lshlrev_b64 v[2:3], 2, v[2:3]
	v_add3_u32 v1, v1, v8, v7
	v_lshlrev_b64 v[0:1], 2, v[0:1]
	v_add_co_u32 v0, vcc_lo, s14, v0
	v_add_co_ci_u32_e64 v1, null, s15, v1, vcc_lo
	v_add_co_u32 v0, vcc_lo, v0, v2
	v_add_co_ci_u32_e64 v1, null, v1, v3, vcc_lo
	s_waitcnt vmcnt(0)
	global_store_dword v[0:1], v6, off
.LBB8_2:
	s_endpgm
	.section	.rodata,"a",@progbits
	.p2align	6, 0x0
	.amdhsa_kernel _ZN9rocsparseL16coo2dense_kernelILj512ElfEEvT0_S1_ll21rocsparse_index_base_PKT1_PKS1_S7_PS3_16rocsparse_order_
		.amdhsa_group_segment_fixed_size 0
		.amdhsa_private_segment_fixed_size 0
		.amdhsa_kernarg_size 76
		.amdhsa_user_sgpr_count 6
		.amdhsa_user_sgpr_private_segment_buffer 1
		.amdhsa_user_sgpr_dispatch_ptr 0
		.amdhsa_user_sgpr_queue_ptr 0
		.amdhsa_user_sgpr_kernarg_segment_ptr 1
		.amdhsa_user_sgpr_dispatch_id 0
		.amdhsa_user_sgpr_flat_scratch_init 0
		.amdhsa_user_sgpr_private_segment_size 0
		.amdhsa_wavefront_size32 1
		.amdhsa_uses_dynamic_stack 0
		.amdhsa_system_sgpr_private_segment_wavefront_offset 0
		.amdhsa_system_sgpr_workgroup_id_x 1
		.amdhsa_system_sgpr_workgroup_id_y 0
		.amdhsa_system_sgpr_workgroup_id_z 0
		.amdhsa_system_sgpr_workgroup_info 0
		.amdhsa_system_vgpr_workitem_id 0
		.amdhsa_next_free_vgpr 9
		.amdhsa_next_free_sgpr 16
		.amdhsa_reserve_vcc 1
		.amdhsa_reserve_flat_scratch 0
		.amdhsa_float_round_mode_32 0
		.amdhsa_float_round_mode_16_64 0
		.amdhsa_float_denorm_mode_32 3
		.amdhsa_float_denorm_mode_16_64 3
		.amdhsa_dx10_clamp 1
		.amdhsa_ieee_mode 1
		.amdhsa_fp16_overflow 0
		.amdhsa_workgroup_processor_mode 1
		.amdhsa_memory_ordered 1
		.amdhsa_forward_progress 1
		.amdhsa_shared_vgpr_count 0
		.amdhsa_exception_fp_ieee_invalid_op 0
		.amdhsa_exception_fp_denorm_src 0
		.amdhsa_exception_fp_ieee_div_zero 0
		.amdhsa_exception_fp_ieee_overflow 0
		.amdhsa_exception_fp_ieee_underflow 0
		.amdhsa_exception_fp_ieee_inexact 0
		.amdhsa_exception_int_div_zero 0
	.end_amdhsa_kernel
	.section	.text._ZN9rocsparseL16coo2dense_kernelILj512ElfEEvT0_S1_ll21rocsparse_index_base_PKT1_PKS1_S7_PS3_16rocsparse_order_,"axG",@progbits,_ZN9rocsparseL16coo2dense_kernelILj512ElfEEvT0_S1_ll21rocsparse_index_base_PKT1_PKS1_S7_PS3_16rocsparse_order_,comdat
.Lfunc_end8:
	.size	_ZN9rocsparseL16coo2dense_kernelILj512ElfEEvT0_S1_ll21rocsparse_index_base_PKT1_PKS1_S7_PS3_16rocsparse_order_, .Lfunc_end8-_ZN9rocsparseL16coo2dense_kernelILj512ElfEEvT0_S1_ll21rocsparse_index_base_PKT1_PKS1_S7_PS3_16rocsparse_order_
                                        ; -- End function
	.set _ZN9rocsparseL16coo2dense_kernelILj512ElfEEvT0_S1_ll21rocsparse_index_base_PKT1_PKS1_S7_PS3_16rocsparse_order_.num_vgpr, 9
	.set _ZN9rocsparseL16coo2dense_kernelILj512ElfEEvT0_S1_ll21rocsparse_index_base_PKT1_PKS1_S7_PS3_16rocsparse_order_.num_agpr, 0
	.set _ZN9rocsparseL16coo2dense_kernelILj512ElfEEvT0_S1_ll21rocsparse_index_base_PKT1_PKS1_S7_PS3_16rocsparse_order_.numbered_sgpr, 16
	.set _ZN9rocsparseL16coo2dense_kernelILj512ElfEEvT0_S1_ll21rocsparse_index_base_PKT1_PKS1_S7_PS3_16rocsparse_order_.num_named_barrier, 0
	.set _ZN9rocsparseL16coo2dense_kernelILj512ElfEEvT0_S1_ll21rocsparse_index_base_PKT1_PKS1_S7_PS3_16rocsparse_order_.private_seg_size, 0
	.set _ZN9rocsparseL16coo2dense_kernelILj512ElfEEvT0_S1_ll21rocsparse_index_base_PKT1_PKS1_S7_PS3_16rocsparse_order_.uses_vcc, 1
	.set _ZN9rocsparseL16coo2dense_kernelILj512ElfEEvT0_S1_ll21rocsparse_index_base_PKT1_PKS1_S7_PS3_16rocsparse_order_.uses_flat_scratch, 0
	.set _ZN9rocsparseL16coo2dense_kernelILj512ElfEEvT0_S1_ll21rocsparse_index_base_PKT1_PKS1_S7_PS3_16rocsparse_order_.has_dyn_sized_stack, 0
	.set _ZN9rocsparseL16coo2dense_kernelILj512ElfEEvT0_S1_ll21rocsparse_index_base_PKT1_PKS1_S7_PS3_16rocsparse_order_.has_recursion, 0
	.set _ZN9rocsparseL16coo2dense_kernelILj512ElfEEvT0_S1_ll21rocsparse_index_base_PKT1_PKS1_S7_PS3_16rocsparse_order_.has_indirect_call, 0
	.section	.AMDGPU.csdata,"",@progbits
; Kernel info:
; codeLenInByte = 320
; TotalNumSgprs: 18
; NumVgprs: 9
; ScratchSize: 0
; MemoryBound: 0
; FloatMode: 240
; IeeeMode: 1
; LDSByteSize: 0 bytes/workgroup (compile time only)
; SGPRBlocks: 0
; VGPRBlocks: 1
; NumSGPRsForWavesPerEU: 18
; NumVGPRsForWavesPerEU: 9
; Occupancy: 16
; WaveLimiterHint : 1
; COMPUTE_PGM_RSRC2:SCRATCH_EN: 0
; COMPUTE_PGM_RSRC2:USER_SGPR: 6
; COMPUTE_PGM_RSRC2:TRAP_HANDLER: 0
; COMPUTE_PGM_RSRC2:TGID_X_EN: 1
; COMPUTE_PGM_RSRC2:TGID_Y_EN: 0
; COMPUTE_PGM_RSRC2:TGID_Z_EN: 0
; COMPUTE_PGM_RSRC2:TIDIG_COMP_CNT: 0
	.section	.text._ZN9rocsparseL16coo2dense_kernelILj512EldEEvT0_S1_ll21rocsparse_index_base_PKT1_PKS1_S7_PS3_16rocsparse_order_,"axG",@progbits,_ZN9rocsparseL16coo2dense_kernelILj512EldEEvT0_S1_ll21rocsparse_index_base_PKT1_PKS1_S7_PS3_16rocsparse_order_,comdat
	.globl	_ZN9rocsparseL16coo2dense_kernelILj512EldEEvT0_S1_ll21rocsparse_index_base_PKT1_PKS1_S7_PS3_16rocsparse_order_ ; -- Begin function _ZN9rocsparseL16coo2dense_kernelILj512EldEEvT0_S1_ll21rocsparse_index_base_PKT1_PKS1_S7_PS3_16rocsparse_order_
	.p2align	8
	.type	_ZN9rocsparseL16coo2dense_kernelILj512EldEEvT0_S1_ll21rocsparse_index_base_PKT1_PKS1_S7_PS3_16rocsparse_order_,@function
_ZN9rocsparseL16coo2dense_kernelILj512EldEEvT0_S1_ll21rocsparse_index_base_PKT1_PKS1_S7_PS3_16rocsparse_order_: ; @_ZN9rocsparseL16coo2dense_kernelILj512EldEEvT0_S1_ll21rocsparse_index_base_PKT1_PKS1_S7_PS3_16rocsparse_order_
; %bb.0:
	s_load_dwordx4 s[0:3], s[4:5], 0x10
	v_lshl_or_b32 v0, s6, 9, v0
	v_mov_b32_e32 v1, 0
	s_waitcnt lgkmcnt(0)
	v_cmp_gt_i64_e32 vcc_lo, s[0:1], v[0:1]
	s_and_saveexec_b32 s0, vcc_lo
	s_cbranch_execz .LBB9_2
; %bb.1:
	s_load_dwordx8 s[8:15], s[4:5], 0x28
	v_lshlrev_b64 v[0:1], 3, v[0:1]
	s_waitcnt lgkmcnt(0)
	v_add_co_u32 v2, vcc_lo, s10, v0
	v_add_co_ci_u32_e64 v3, null, s11, v1, vcc_lo
	v_add_co_u32 v4, vcc_lo, s12, v0
	v_add_co_ci_u32_e64 v5, null, s13, v1, vcc_lo
	global_load_dwordx2 v[2:3], v[2:3], off
	global_load_dwordx2 v[4:5], v[4:5], off
	v_add_co_u32 v0, vcc_lo, s8, v0
	v_add_co_ci_u32_e64 v1, null, s9, v1, vcc_lo
	global_load_dwordx2 v[0:1], v[0:1], off
	s_clause 0x1
	s_load_dword s0, s[4:5], 0x20
	s_load_dword s1, s[4:5], 0x48
	s_waitcnt lgkmcnt(0)
	s_cmp_eq_u32 s1, 1
	s_waitcnt vmcnt(2)
	v_sub_co_u32 v6, vcc_lo, v2, s0
	v_subrev_co_ci_u32_e64 v7, null, 0, v3, vcc_lo
	s_waitcnt vmcnt(1)
	v_sub_co_u32 v4, vcc_lo, v4, s0
	v_subrev_co_ci_u32_e64 v5, null, 0, v5, vcc_lo
	s_cselect_b32 vcc_lo, -1, 0
	v_cndmask_b32_e32 v2, v6, v4, vcc_lo
	v_cndmask_b32_e32 v3, v7, v5, vcc_lo
	;; [unrolled: 1-line block ×4, first 2 shown]
	v_mul_lo_u32 v9, v2, s3
	v_mul_lo_u32 v8, v3, s2
	v_mad_u64_u32 v[2:3], null, v2, s2, 0
	v_lshlrev_b64 v[4:5], 3, v[4:5]
	v_add3_u32 v3, v3, v9, v8
	v_lshlrev_b64 v[2:3], 3, v[2:3]
	v_add_co_u32 v2, vcc_lo, s14, v2
	v_add_co_ci_u32_e64 v3, null, s15, v3, vcc_lo
	v_add_co_u32 v2, vcc_lo, v2, v4
	v_add_co_ci_u32_e64 v3, null, v3, v5, vcc_lo
	s_waitcnt vmcnt(0)
	global_store_dwordx2 v[2:3], v[0:1], off
.LBB9_2:
	s_endpgm
	.section	.rodata,"a",@progbits
	.p2align	6, 0x0
	.amdhsa_kernel _ZN9rocsparseL16coo2dense_kernelILj512EldEEvT0_S1_ll21rocsparse_index_base_PKT1_PKS1_S7_PS3_16rocsparse_order_
		.amdhsa_group_segment_fixed_size 0
		.amdhsa_private_segment_fixed_size 0
		.amdhsa_kernarg_size 76
		.amdhsa_user_sgpr_count 6
		.amdhsa_user_sgpr_private_segment_buffer 1
		.amdhsa_user_sgpr_dispatch_ptr 0
		.amdhsa_user_sgpr_queue_ptr 0
		.amdhsa_user_sgpr_kernarg_segment_ptr 1
		.amdhsa_user_sgpr_dispatch_id 0
		.amdhsa_user_sgpr_flat_scratch_init 0
		.amdhsa_user_sgpr_private_segment_size 0
		.amdhsa_wavefront_size32 1
		.amdhsa_uses_dynamic_stack 0
		.amdhsa_system_sgpr_private_segment_wavefront_offset 0
		.amdhsa_system_sgpr_workgroup_id_x 1
		.amdhsa_system_sgpr_workgroup_id_y 0
		.amdhsa_system_sgpr_workgroup_id_z 0
		.amdhsa_system_sgpr_workgroup_info 0
		.amdhsa_system_vgpr_workitem_id 0
		.amdhsa_next_free_vgpr 10
		.amdhsa_next_free_sgpr 16
		.amdhsa_reserve_vcc 1
		.amdhsa_reserve_flat_scratch 0
		.amdhsa_float_round_mode_32 0
		.amdhsa_float_round_mode_16_64 0
		.amdhsa_float_denorm_mode_32 3
		.amdhsa_float_denorm_mode_16_64 3
		.amdhsa_dx10_clamp 1
		.amdhsa_ieee_mode 1
		.amdhsa_fp16_overflow 0
		.amdhsa_workgroup_processor_mode 1
		.amdhsa_memory_ordered 1
		.amdhsa_forward_progress 1
		.amdhsa_shared_vgpr_count 0
		.amdhsa_exception_fp_ieee_invalid_op 0
		.amdhsa_exception_fp_denorm_src 0
		.amdhsa_exception_fp_ieee_div_zero 0
		.amdhsa_exception_fp_ieee_overflow 0
		.amdhsa_exception_fp_ieee_underflow 0
		.amdhsa_exception_fp_ieee_inexact 0
		.amdhsa_exception_int_div_zero 0
	.end_amdhsa_kernel
	.section	.text._ZN9rocsparseL16coo2dense_kernelILj512EldEEvT0_S1_ll21rocsparse_index_base_PKT1_PKS1_S7_PS3_16rocsparse_order_,"axG",@progbits,_ZN9rocsparseL16coo2dense_kernelILj512EldEEvT0_S1_ll21rocsparse_index_base_PKT1_PKS1_S7_PS3_16rocsparse_order_,comdat
.Lfunc_end9:
	.size	_ZN9rocsparseL16coo2dense_kernelILj512EldEEvT0_S1_ll21rocsparse_index_base_PKT1_PKS1_S7_PS3_16rocsparse_order_, .Lfunc_end9-_ZN9rocsparseL16coo2dense_kernelILj512EldEEvT0_S1_ll21rocsparse_index_base_PKT1_PKS1_S7_PS3_16rocsparse_order_
                                        ; -- End function
	.set _ZN9rocsparseL16coo2dense_kernelILj512EldEEvT0_S1_ll21rocsparse_index_base_PKT1_PKS1_S7_PS3_16rocsparse_order_.num_vgpr, 10
	.set _ZN9rocsparseL16coo2dense_kernelILj512EldEEvT0_S1_ll21rocsparse_index_base_PKT1_PKS1_S7_PS3_16rocsparse_order_.num_agpr, 0
	.set _ZN9rocsparseL16coo2dense_kernelILj512EldEEvT0_S1_ll21rocsparse_index_base_PKT1_PKS1_S7_PS3_16rocsparse_order_.numbered_sgpr, 16
	.set _ZN9rocsparseL16coo2dense_kernelILj512EldEEvT0_S1_ll21rocsparse_index_base_PKT1_PKS1_S7_PS3_16rocsparse_order_.num_named_barrier, 0
	.set _ZN9rocsparseL16coo2dense_kernelILj512EldEEvT0_S1_ll21rocsparse_index_base_PKT1_PKS1_S7_PS3_16rocsparse_order_.private_seg_size, 0
	.set _ZN9rocsparseL16coo2dense_kernelILj512EldEEvT0_S1_ll21rocsparse_index_base_PKT1_PKS1_S7_PS3_16rocsparse_order_.uses_vcc, 1
	.set _ZN9rocsparseL16coo2dense_kernelILj512EldEEvT0_S1_ll21rocsparse_index_base_PKT1_PKS1_S7_PS3_16rocsparse_order_.uses_flat_scratch, 0
	.set _ZN9rocsparseL16coo2dense_kernelILj512EldEEvT0_S1_ll21rocsparse_index_base_PKT1_PKS1_S7_PS3_16rocsparse_order_.has_dyn_sized_stack, 0
	.set _ZN9rocsparseL16coo2dense_kernelILj512EldEEvT0_S1_ll21rocsparse_index_base_PKT1_PKS1_S7_PS3_16rocsparse_order_.has_recursion, 0
	.set _ZN9rocsparseL16coo2dense_kernelILj512EldEEvT0_S1_ll21rocsparse_index_base_PKT1_PKS1_S7_PS3_16rocsparse_order_.has_indirect_call, 0
	.section	.AMDGPU.csdata,"",@progbits
; Kernel info:
; codeLenInByte = 312
; TotalNumSgprs: 18
; NumVgprs: 10
; ScratchSize: 0
; MemoryBound: 0
; FloatMode: 240
; IeeeMode: 1
; LDSByteSize: 0 bytes/workgroup (compile time only)
; SGPRBlocks: 0
; VGPRBlocks: 1
; NumSGPRsForWavesPerEU: 18
; NumVGPRsForWavesPerEU: 10
; Occupancy: 16
; WaveLimiterHint : 1
; COMPUTE_PGM_RSRC2:SCRATCH_EN: 0
; COMPUTE_PGM_RSRC2:USER_SGPR: 6
; COMPUTE_PGM_RSRC2:TRAP_HANDLER: 0
; COMPUTE_PGM_RSRC2:TGID_X_EN: 1
; COMPUTE_PGM_RSRC2:TGID_Y_EN: 0
; COMPUTE_PGM_RSRC2:TGID_Z_EN: 0
; COMPUTE_PGM_RSRC2:TIDIG_COMP_CNT: 0
	.section	.text._ZN9rocsparseL16coo2dense_kernelILj512El21rocsparse_complex_numIfEEEvT0_S3_ll21rocsparse_index_base_PKT1_PKS3_S9_PS5_16rocsparse_order_,"axG",@progbits,_ZN9rocsparseL16coo2dense_kernelILj512El21rocsparse_complex_numIfEEEvT0_S3_ll21rocsparse_index_base_PKT1_PKS3_S9_PS5_16rocsparse_order_,comdat
	.globl	_ZN9rocsparseL16coo2dense_kernelILj512El21rocsparse_complex_numIfEEEvT0_S3_ll21rocsparse_index_base_PKT1_PKS3_S9_PS5_16rocsparse_order_ ; -- Begin function _ZN9rocsparseL16coo2dense_kernelILj512El21rocsparse_complex_numIfEEEvT0_S3_ll21rocsparse_index_base_PKT1_PKS3_S9_PS5_16rocsparse_order_
	.p2align	8
	.type	_ZN9rocsparseL16coo2dense_kernelILj512El21rocsparse_complex_numIfEEEvT0_S3_ll21rocsparse_index_base_PKT1_PKS3_S9_PS5_16rocsparse_order_,@function
_ZN9rocsparseL16coo2dense_kernelILj512El21rocsparse_complex_numIfEEEvT0_S3_ll21rocsparse_index_base_PKT1_PKS3_S9_PS5_16rocsparse_order_: ; @_ZN9rocsparseL16coo2dense_kernelILj512El21rocsparse_complex_numIfEEEvT0_S3_ll21rocsparse_index_base_PKT1_PKS3_S9_PS5_16rocsparse_order_
; %bb.0:
	s_load_dwordx4 s[0:3], s[4:5], 0x10
	v_lshl_or_b32 v0, s6, 9, v0
	v_mov_b32_e32 v1, 0
	s_waitcnt lgkmcnt(0)
	v_cmp_gt_i64_e32 vcc_lo, s[0:1], v[0:1]
	s_and_saveexec_b32 s0, vcc_lo
	s_cbranch_execz .LBB10_2
; %bb.1:
	s_load_dwordx8 s[8:15], s[4:5], 0x28
	v_lshlrev_b64 v[0:1], 3, v[0:1]
	s_waitcnt lgkmcnt(0)
	v_add_co_u32 v2, vcc_lo, s10, v0
	v_add_co_ci_u32_e64 v3, null, s11, v1, vcc_lo
	v_add_co_u32 v4, vcc_lo, s12, v0
	v_add_co_ci_u32_e64 v5, null, s13, v1, vcc_lo
	global_load_dwordx2 v[2:3], v[2:3], off
	global_load_dwordx2 v[4:5], v[4:5], off
	v_add_co_u32 v0, vcc_lo, s8, v0
	v_add_co_ci_u32_e64 v1, null, s9, v1, vcc_lo
	global_load_dwordx2 v[0:1], v[0:1], off
	s_clause 0x1
	s_load_dword s0, s[4:5], 0x20
	s_load_dword s1, s[4:5], 0x48
	s_waitcnt lgkmcnt(0)
	s_cmp_eq_u32 s1, 1
	s_waitcnt vmcnt(2)
	v_sub_co_u32 v6, vcc_lo, v2, s0
	v_subrev_co_ci_u32_e64 v7, null, 0, v3, vcc_lo
	s_waitcnt vmcnt(1)
	v_sub_co_u32 v4, vcc_lo, v4, s0
	v_subrev_co_ci_u32_e64 v5, null, 0, v5, vcc_lo
	s_cselect_b32 vcc_lo, -1, 0
	v_cndmask_b32_e32 v2, v6, v4, vcc_lo
	v_cndmask_b32_e32 v3, v7, v5, vcc_lo
	;; [unrolled: 1-line block ×4, first 2 shown]
	v_mul_lo_u32 v9, v2, s3
	v_mul_lo_u32 v8, v3, s2
	v_mad_u64_u32 v[2:3], null, v2, s2, 0
	v_lshlrev_b64 v[4:5], 3, v[4:5]
	v_add3_u32 v3, v3, v9, v8
	v_lshlrev_b64 v[2:3], 3, v[2:3]
	v_add_co_u32 v2, vcc_lo, s14, v2
	v_add_co_ci_u32_e64 v3, null, s15, v3, vcc_lo
	v_add_co_u32 v2, vcc_lo, v2, v4
	v_add_co_ci_u32_e64 v3, null, v3, v5, vcc_lo
	s_waitcnt vmcnt(0)
	global_store_dwordx2 v[2:3], v[0:1], off
.LBB10_2:
	s_endpgm
	.section	.rodata,"a",@progbits
	.p2align	6, 0x0
	.amdhsa_kernel _ZN9rocsparseL16coo2dense_kernelILj512El21rocsparse_complex_numIfEEEvT0_S3_ll21rocsparse_index_base_PKT1_PKS3_S9_PS5_16rocsparse_order_
		.amdhsa_group_segment_fixed_size 0
		.amdhsa_private_segment_fixed_size 0
		.amdhsa_kernarg_size 76
		.amdhsa_user_sgpr_count 6
		.amdhsa_user_sgpr_private_segment_buffer 1
		.amdhsa_user_sgpr_dispatch_ptr 0
		.amdhsa_user_sgpr_queue_ptr 0
		.amdhsa_user_sgpr_kernarg_segment_ptr 1
		.amdhsa_user_sgpr_dispatch_id 0
		.amdhsa_user_sgpr_flat_scratch_init 0
		.amdhsa_user_sgpr_private_segment_size 0
		.amdhsa_wavefront_size32 1
		.amdhsa_uses_dynamic_stack 0
		.amdhsa_system_sgpr_private_segment_wavefront_offset 0
		.amdhsa_system_sgpr_workgroup_id_x 1
		.amdhsa_system_sgpr_workgroup_id_y 0
		.amdhsa_system_sgpr_workgroup_id_z 0
		.amdhsa_system_sgpr_workgroup_info 0
		.amdhsa_system_vgpr_workitem_id 0
		.amdhsa_next_free_vgpr 10
		.amdhsa_next_free_sgpr 16
		.amdhsa_reserve_vcc 1
		.amdhsa_reserve_flat_scratch 0
		.amdhsa_float_round_mode_32 0
		.amdhsa_float_round_mode_16_64 0
		.amdhsa_float_denorm_mode_32 3
		.amdhsa_float_denorm_mode_16_64 3
		.amdhsa_dx10_clamp 1
		.amdhsa_ieee_mode 1
		.amdhsa_fp16_overflow 0
		.amdhsa_workgroup_processor_mode 1
		.amdhsa_memory_ordered 1
		.amdhsa_forward_progress 1
		.amdhsa_shared_vgpr_count 0
		.amdhsa_exception_fp_ieee_invalid_op 0
		.amdhsa_exception_fp_denorm_src 0
		.amdhsa_exception_fp_ieee_div_zero 0
		.amdhsa_exception_fp_ieee_overflow 0
		.amdhsa_exception_fp_ieee_underflow 0
		.amdhsa_exception_fp_ieee_inexact 0
		.amdhsa_exception_int_div_zero 0
	.end_amdhsa_kernel
	.section	.text._ZN9rocsparseL16coo2dense_kernelILj512El21rocsparse_complex_numIfEEEvT0_S3_ll21rocsparse_index_base_PKT1_PKS3_S9_PS5_16rocsparse_order_,"axG",@progbits,_ZN9rocsparseL16coo2dense_kernelILj512El21rocsparse_complex_numIfEEEvT0_S3_ll21rocsparse_index_base_PKT1_PKS3_S9_PS5_16rocsparse_order_,comdat
.Lfunc_end10:
	.size	_ZN9rocsparseL16coo2dense_kernelILj512El21rocsparse_complex_numIfEEEvT0_S3_ll21rocsparse_index_base_PKT1_PKS3_S9_PS5_16rocsparse_order_, .Lfunc_end10-_ZN9rocsparseL16coo2dense_kernelILj512El21rocsparse_complex_numIfEEEvT0_S3_ll21rocsparse_index_base_PKT1_PKS3_S9_PS5_16rocsparse_order_
                                        ; -- End function
	.set _ZN9rocsparseL16coo2dense_kernelILj512El21rocsparse_complex_numIfEEEvT0_S3_ll21rocsparse_index_base_PKT1_PKS3_S9_PS5_16rocsparse_order_.num_vgpr, 10
	.set _ZN9rocsparseL16coo2dense_kernelILj512El21rocsparse_complex_numIfEEEvT0_S3_ll21rocsparse_index_base_PKT1_PKS3_S9_PS5_16rocsparse_order_.num_agpr, 0
	.set _ZN9rocsparseL16coo2dense_kernelILj512El21rocsparse_complex_numIfEEEvT0_S3_ll21rocsparse_index_base_PKT1_PKS3_S9_PS5_16rocsparse_order_.numbered_sgpr, 16
	.set _ZN9rocsparseL16coo2dense_kernelILj512El21rocsparse_complex_numIfEEEvT0_S3_ll21rocsparse_index_base_PKT1_PKS3_S9_PS5_16rocsparse_order_.num_named_barrier, 0
	.set _ZN9rocsparseL16coo2dense_kernelILj512El21rocsparse_complex_numIfEEEvT0_S3_ll21rocsparse_index_base_PKT1_PKS3_S9_PS5_16rocsparse_order_.private_seg_size, 0
	.set _ZN9rocsparseL16coo2dense_kernelILj512El21rocsparse_complex_numIfEEEvT0_S3_ll21rocsparse_index_base_PKT1_PKS3_S9_PS5_16rocsparse_order_.uses_vcc, 1
	.set _ZN9rocsparseL16coo2dense_kernelILj512El21rocsparse_complex_numIfEEEvT0_S3_ll21rocsparse_index_base_PKT1_PKS3_S9_PS5_16rocsparse_order_.uses_flat_scratch, 0
	.set _ZN9rocsparseL16coo2dense_kernelILj512El21rocsparse_complex_numIfEEEvT0_S3_ll21rocsparse_index_base_PKT1_PKS3_S9_PS5_16rocsparse_order_.has_dyn_sized_stack, 0
	.set _ZN9rocsparseL16coo2dense_kernelILj512El21rocsparse_complex_numIfEEEvT0_S3_ll21rocsparse_index_base_PKT1_PKS3_S9_PS5_16rocsparse_order_.has_recursion, 0
	.set _ZN9rocsparseL16coo2dense_kernelILj512El21rocsparse_complex_numIfEEEvT0_S3_ll21rocsparse_index_base_PKT1_PKS3_S9_PS5_16rocsparse_order_.has_indirect_call, 0
	.section	.AMDGPU.csdata,"",@progbits
; Kernel info:
; codeLenInByte = 312
; TotalNumSgprs: 18
; NumVgprs: 10
; ScratchSize: 0
; MemoryBound: 0
; FloatMode: 240
; IeeeMode: 1
; LDSByteSize: 0 bytes/workgroup (compile time only)
; SGPRBlocks: 0
; VGPRBlocks: 1
; NumSGPRsForWavesPerEU: 18
; NumVGPRsForWavesPerEU: 10
; Occupancy: 16
; WaveLimiterHint : 1
; COMPUTE_PGM_RSRC2:SCRATCH_EN: 0
; COMPUTE_PGM_RSRC2:USER_SGPR: 6
; COMPUTE_PGM_RSRC2:TRAP_HANDLER: 0
; COMPUTE_PGM_RSRC2:TGID_X_EN: 1
; COMPUTE_PGM_RSRC2:TGID_Y_EN: 0
; COMPUTE_PGM_RSRC2:TGID_Z_EN: 0
; COMPUTE_PGM_RSRC2:TIDIG_COMP_CNT: 0
	.section	.text._ZN9rocsparseL16coo2dense_kernelILj512El21rocsparse_complex_numIdEEEvT0_S3_ll21rocsparse_index_base_PKT1_PKS3_S9_PS5_16rocsparse_order_,"axG",@progbits,_ZN9rocsparseL16coo2dense_kernelILj512El21rocsparse_complex_numIdEEEvT0_S3_ll21rocsparse_index_base_PKT1_PKS3_S9_PS5_16rocsparse_order_,comdat
	.globl	_ZN9rocsparseL16coo2dense_kernelILj512El21rocsparse_complex_numIdEEEvT0_S3_ll21rocsparse_index_base_PKT1_PKS3_S9_PS5_16rocsparse_order_ ; -- Begin function _ZN9rocsparseL16coo2dense_kernelILj512El21rocsparse_complex_numIdEEEvT0_S3_ll21rocsparse_index_base_PKT1_PKS3_S9_PS5_16rocsparse_order_
	.p2align	8
	.type	_ZN9rocsparseL16coo2dense_kernelILj512El21rocsparse_complex_numIdEEEvT0_S3_ll21rocsparse_index_base_PKT1_PKS3_S9_PS5_16rocsparse_order_,@function
_ZN9rocsparseL16coo2dense_kernelILj512El21rocsparse_complex_numIdEEEvT0_S3_ll21rocsparse_index_base_PKT1_PKS3_S9_PS5_16rocsparse_order_: ; @_ZN9rocsparseL16coo2dense_kernelILj512El21rocsparse_complex_numIdEEEvT0_S3_ll21rocsparse_index_base_PKT1_PKS3_S9_PS5_16rocsparse_order_
; %bb.0:
	s_load_dwordx4 s[0:3], s[4:5], 0x10
	v_lshl_or_b32 v0, s6, 9, v0
	v_mov_b32_e32 v1, 0
	s_waitcnt lgkmcnt(0)
	v_cmp_gt_i64_e32 vcc_lo, s[0:1], v[0:1]
	s_and_saveexec_b32 s0, vcc_lo
	s_cbranch_execz .LBB11_2
; %bb.1:
	s_load_dwordx8 s[8:15], s[4:5], 0x28
	v_lshlrev_b64 v[2:3], 3, v[0:1]
	v_lshlrev_b64 v[0:1], 4, v[0:1]
	s_waitcnt lgkmcnt(0)
	v_add_co_u32 v4, vcc_lo, s10, v2
	v_add_co_ci_u32_e64 v5, null, s11, v3, vcc_lo
	v_add_co_u32 v2, vcc_lo, s12, v2
	v_add_co_ci_u32_e64 v3, null, s13, v3, vcc_lo
	global_load_dwordx2 v[4:5], v[4:5], off
	global_load_dwordx2 v[6:7], v[2:3], off
	v_add_co_u32 v0, vcc_lo, s8, v0
	v_add_co_ci_u32_e64 v1, null, s9, v1, vcc_lo
	global_load_dwordx4 v[0:3], v[0:1], off
	s_clause 0x1
	s_load_dword s0, s[4:5], 0x20
	s_load_dword s1, s[4:5], 0x48
	s_waitcnt lgkmcnt(0)
	s_cmp_eq_u32 s1, 1
	s_waitcnt vmcnt(2)
	v_sub_co_u32 v8, vcc_lo, v4, s0
	v_subrev_co_ci_u32_e64 v9, null, 0, v5, vcc_lo
	s_waitcnt vmcnt(1)
	v_sub_co_u32 v6, vcc_lo, v6, s0
	v_subrev_co_ci_u32_e64 v7, null, 0, v7, vcc_lo
	s_cselect_b32 vcc_lo, -1, 0
	v_cndmask_b32_e32 v4, v8, v6, vcc_lo
	v_cndmask_b32_e32 v5, v9, v7, vcc_lo
	;; [unrolled: 1-line block ×4, first 2 shown]
	v_mul_lo_u32 v11, v4, s3
	v_mul_lo_u32 v10, v5, s2
	v_mad_u64_u32 v[4:5], null, v4, s2, 0
	v_lshlrev_b64 v[6:7], 4, v[6:7]
	v_add3_u32 v5, v5, v11, v10
	v_lshlrev_b64 v[4:5], 4, v[4:5]
	v_add_co_u32 v4, vcc_lo, s14, v4
	v_add_co_ci_u32_e64 v5, null, s15, v5, vcc_lo
	v_add_co_u32 v4, vcc_lo, v4, v6
	v_add_co_ci_u32_e64 v5, null, v5, v7, vcc_lo
	s_waitcnt vmcnt(0)
	global_store_dwordx4 v[4:5], v[0:3], off
.LBB11_2:
	s_endpgm
	.section	.rodata,"a",@progbits
	.p2align	6, 0x0
	.amdhsa_kernel _ZN9rocsparseL16coo2dense_kernelILj512El21rocsparse_complex_numIdEEEvT0_S3_ll21rocsparse_index_base_PKT1_PKS3_S9_PS5_16rocsparse_order_
		.amdhsa_group_segment_fixed_size 0
		.amdhsa_private_segment_fixed_size 0
		.amdhsa_kernarg_size 76
		.amdhsa_user_sgpr_count 6
		.amdhsa_user_sgpr_private_segment_buffer 1
		.amdhsa_user_sgpr_dispatch_ptr 0
		.amdhsa_user_sgpr_queue_ptr 0
		.amdhsa_user_sgpr_kernarg_segment_ptr 1
		.amdhsa_user_sgpr_dispatch_id 0
		.amdhsa_user_sgpr_flat_scratch_init 0
		.amdhsa_user_sgpr_private_segment_size 0
		.amdhsa_wavefront_size32 1
		.amdhsa_uses_dynamic_stack 0
		.amdhsa_system_sgpr_private_segment_wavefront_offset 0
		.amdhsa_system_sgpr_workgroup_id_x 1
		.amdhsa_system_sgpr_workgroup_id_y 0
		.amdhsa_system_sgpr_workgroup_id_z 0
		.amdhsa_system_sgpr_workgroup_info 0
		.amdhsa_system_vgpr_workitem_id 0
		.amdhsa_next_free_vgpr 12
		.amdhsa_next_free_sgpr 16
		.amdhsa_reserve_vcc 1
		.amdhsa_reserve_flat_scratch 0
		.amdhsa_float_round_mode_32 0
		.amdhsa_float_round_mode_16_64 0
		.amdhsa_float_denorm_mode_32 3
		.amdhsa_float_denorm_mode_16_64 3
		.amdhsa_dx10_clamp 1
		.amdhsa_ieee_mode 1
		.amdhsa_fp16_overflow 0
		.amdhsa_workgroup_processor_mode 1
		.amdhsa_memory_ordered 1
		.amdhsa_forward_progress 1
		.amdhsa_shared_vgpr_count 0
		.amdhsa_exception_fp_ieee_invalid_op 0
		.amdhsa_exception_fp_denorm_src 0
		.amdhsa_exception_fp_ieee_div_zero 0
		.amdhsa_exception_fp_ieee_overflow 0
		.amdhsa_exception_fp_ieee_underflow 0
		.amdhsa_exception_fp_ieee_inexact 0
		.amdhsa_exception_int_div_zero 0
	.end_amdhsa_kernel
	.section	.text._ZN9rocsparseL16coo2dense_kernelILj512El21rocsparse_complex_numIdEEEvT0_S3_ll21rocsparse_index_base_PKT1_PKS3_S9_PS5_16rocsparse_order_,"axG",@progbits,_ZN9rocsparseL16coo2dense_kernelILj512El21rocsparse_complex_numIdEEEvT0_S3_ll21rocsparse_index_base_PKT1_PKS3_S9_PS5_16rocsparse_order_,comdat
.Lfunc_end11:
	.size	_ZN9rocsparseL16coo2dense_kernelILj512El21rocsparse_complex_numIdEEEvT0_S3_ll21rocsparse_index_base_PKT1_PKS3_S9_PS5_16rocsparse_order_, .Lfunc_end11-_ZN9rocsparseL16coo2dense_kernelILj512El21rocsparse_complex_numIdEEEvT0_S3_ll21rocsparse_index_base_PKT1_PKS3_S9_PS5_16rocsparse_order_
                                        ; -- End function
	.set _ZN9rocsparseL16coo2dense_kernelILj512El21rocsparse_complex_numIdEEEvT0_S3_ll21rocsparse_index_base_PKT1_PKS3_S9_PS5_16rocsparse_order_.num_vgpr, 12
	.set _ZN9rocsparseL16coo2dense_kernelILj512El21rocsparse_complex_numIdEEEvT0_S3_ll21rocsparse_index_base_PKT1_PKS3_S9_PS5_16rocsparse_order_.num_agpr, 0
	.set _ZN9rocsparseL16coo2dense_kernelILj512El21rocsparse_complex_numIdEEEvT0_S3_ll21rocsparse_index_base_PKT1_PKS3_S9_PS5_16rocsparse_order_.numbered_sgpr, 16
	.set _ZN9rocsparseL16coo2dense_kernelILj512El21rocsparse_complex_numIdEEEvT0_S3_ll21rocsparse_index_base_PKT1_PKS3_S9_PS5_16rocsparse_order_.num_named_barrier, 0
	.set _ZN9rocsparseL16coo2dense_kernelILj512El21rocsparse_complex_numIdEEEvT0_S3_ll21rocsparse_index_base_PKT1_PKS3_S9_PS5_16rocsparse_order_.private_seg_size, 0
	.set _ZN9rocsparseL16coo2dense_kernelILj512El21rocsparse_complex_numIdEEEvT0_S3_ll21rocsparse_index_base_PKT1_PKS3_S9_PS5_16rocsparse_order_.uses_vcc, 1
	.set _ZN9rocsparseL16coo2dense_kernelILj512El21rocsparse_complex_numIdEEEvT0_S3_ll21rocsparse_index_base_PKT1_PKS3_S9_PS5_16rocsparse_order_.uses_flat_scratch, 0
	.set _ZN9rocsparseL16coo2dense_kernelILj512El21rocsparse_complex_numIdEEEvT0_S3_ll21rocsparse_index_base_PKT1_PKS3_S9_PS5_16rocsparse_order_.has_dyn_sized_stack, 0
	.set _ZN9rocsparseL16coo2dense_kernelILj512El21rocsparse_complex_numIdEEEvT0_S3_ll21rocsparse_index_base_PKT1_PKS3_S9_PS5_16rocsparse_order_.has_recursion, 0
	.set _ZN9rocsparseL16coo2dense_kernelILj512El21rocsparse_complex_numIdEEEvT0_S3_ll21rocsparse_index_base_PKT1_PKS3_S9_PS5_16rocsparse_order_.has_indirect_call, 0
	.section	.AMDGPU.csdata,"",@progbits
; Kernel info:
; codeLenInByte = 320
; TotalNumSgprs: 18
; NumVgprs: 12
; ScratchSize: 0
; MemoryBound: 0
; FloatMode: 240
; IeeeMode: 1
; LDSByteSize: 0 bytes/workgroup (compile time only)
; SGPRBlocks: 0
; VGPRBlocks: 1
; NumSGPRsForWavesPerEU: 18
; NumVGPRsForWavesPerEU: 12
; Occupancy: 16
; WaveLimiterHint : 1
; COMPUTE_PGM_RSRC2:SCRATCH_EN: 0
; COMPUTE_PGM_RSRC2:USER_SGPR: 6
; COMPUTE_PGM_RSRC2:TRAP_HANDLER: 0
; COMPUTE_PGM_RSRC2:TGID_X_EN: 1
; COMPUTE_PGM_RSRC2:TGID_Y_EN: 0
; COMPUTE_PGM_RSRC2:TGID_Z_EN: 0
; COMPUTE_PGM_RSRC2:TIDIG_COMP_CNT: 0
	.section	.AMDGPU.gpr_maximums,"",@progbits
	.set amdgpu.max_num_vgpr, 0
	.set amdgpu.max_num_agpr, 0
	.set amdgpu.max_num_sgpr, 0
	.section	.AMDGPU.csdata,"",@progbits
	.type	__hip_cuid_617004e90e021a83,@object ; @__hip_cuid_617004e90e021a83
	.section	.bss,"aw",@nobits
	.globl	__hip_cuid_617004e90e021a83
__hip_cuid_617004e90e021a83:
	.byte	0                               ; 0x0
	.size	__hip_cuid_617004e90e021a83, 1

	.ident	"AMD clang version 22.0.0git (https://github.com/RadeonOpenCompute/llvm-project roc-7.2.4 26084 f58b06dce1f9c15707c5f808fd002e18c2accf7e)"
	.section	".note.GNU-stack","",@progbits
	.addrsig
	.addrsig_sym __hip_cuid_617004e90e021a83
	.amdgpu_metadata
---
amdhsa.kernels:
  - .args:
      - .offset:         0
        .size:           4
        .value_kind:     by_value
      - .offset:         4
        .size:           4
        .value_kind:     by_value
      - .offset:         8
        .size:           8
        .value_kind:     by_value
      - .offset:         16
        .size:           8
        .value_kind:     by_value
      - .offset:         24
        .size:           4
        .value_kind:     by_value
      - .address_space:  global
        .offset:         32
        .size:           8
        .value_kind:     global_buffer
      - .address_space:  global
        .offset:         40
        .size:           8
        .value_kind:     global_buffer
      - .address_space:  global
        .offset:         48
        .size:           8
        .value_kind:     global_buffer
      - .address_space:  global
        .offset:         56
        .size:           8
        .value_kind:     global_buffer
      - .offset:         64
        .size:           4
        .value_kind:     by_value
    .group_segment_fixed_size: 0
    .kernarg_segment_align: 8
    .kernarg_segment_size: 68
    .language:       OpenCL C
    .language_version:
      - 2
      - 0
    .max_flat_workgroup_size: 512
    .name:           _ZN9rocsparseL16coo2dense_kernelILj512EiDF16_EEvT0_S1_ll21rocsparse_index_base_PKT1_PKS1_S7_PS3_16rocsparse_order_
    .private_segment_fixed_size: 0
    .sgpr_count:     18
    .sgpr_spill_count: 0
    .symbol:         _ZN9rocsparseL16coo2dense_kernelILj512EiDF16_EEvT0_S1_ll21rocsparse_index_base_PKT1_PKS1_S7_PS3_16rocsparse_order_.kd
    .uniform_work_group_size: 1
    .uses_dynamic_stack: false
    .vgpr_count:     7
    .vgpr_spill_count: 0
    .wavefront_size: 32
    .workgroup_processor_mode: 1
  - .args:
      - .offset:         0
        .size:           4
        .value_kind:     by_value
      - .offset:         4
        .size:           4
        .value_kind:     by_value
      - .offset:         8
        .size:           8
        .value_kind:     by_value
      - .offset:         16
        .size:           8
        .value_kind:     by_value
      - .offset:         24
        .size:           4
        .value_kind:     by_value
      - .address_space:  global
        .offset:         32
        .size:           8
        .value_kind:     global_buffer
      - .address_space:  global
        .offset:         40
        .size:           8
        .value_kind:     global_buffer
      - .address_space:  global
        .offset:         48
        .size:           8
        .value_kind:     global_buffer
      - .address_space:  global
        .offset:         56
        .size:           8
        .value_kind:     global_buffer
      - .offset:         64
        .size:           4
        .value_kind:     by_value
    .group_segment_fixed_size: 0
    .kernarg_segment_align: 8
    .kernarg_segment_size: 68
    .language:       OpenCL C
    .language_version:
      - 2
      - 0
    .max_flat_workgroup_size: 512
    .name:           _ZN9rocsparseL16coo2dense_kernelILj512Ei18rocsparse_bfloat16EEvT0_S2_ll21rocsparse_index_base_PKT1_PKS2_S8_PS4_16rocsparse_order_
    .private_segment_fixed_size: 0
    .sgpr_count:     18
    .sgpr_spill_count: 0
    .symbol:         _ZN9rocsparseL16coo2dense_kernelILj512Ei18rocsparse_bfloat16EEvT0_S2_ll21rocsparse_index_base_PKT1_PKS2_S8_PS4_16rocsparse_order_.kd
    .uniform_work_group_size: 1
    .uses_dynamic_stack: false
    .vgpr_count:     7
    .vgpr_spill_count: 0
    .wavefront_size: 32
    .workgroup_processor_mode: 1
  - .args:
      - .offset:         0
        .size:           4
        .value_kind:     by_value
      - .offset:         4
        .size:           4
        .value_kind:     by_value
      - .offset:         8
        .size:           8
        .value_kind:     by_value
      - .offset:         16
        .size:           8
        .value_kind:     by_value
      - .offset:         24
        .size:           4
        .value_kind:     by_value
      - .address_space:  global
        .offset:         32
        .size:           8
        .value_kind:     global_buffer
      - .address_space:  global
        .offset:         40
        .size:           8
        .value_kind:     global_buffer
      - .address_space:  global
        .offset:         48
        .size:           8
        .value_kind:     global_buffer
      - .address_space:  global
        .offset:         56
        .size:           8
        .value_kind:     global_buffer
      - .offset:         64
        .size:           4
        .value_kind:     by_value
    .group_segment_fixed_size: 0
    .kernarg_segment_align: 8
    .kernarg_segment_size: 68
    .language:       OpenCL C
    .language_version:
      - 2
      - 0
    .max_flat_workgroup_size: 512
    .name:           _ZN9rocsparseL16coo2dense_kernelILj512EifEEvT0_S1_ll21rocsparse_index_base_PKT1_PKS1_S7_PS3_16rocsparse_order_
    .private_segment_fixed_size: 0
    .sgpr_count:     18
    .sgpr_spill_count: 0
    .symbol:         _ZN9rocsparseL16coo2dense_kernelILj512EifEEvT0_S1_ll21rocsparse_index_base_PKT1_PKS1_S7_PS3_16rocsparse_order_.kd
    .uniform_work_group_size: 1
    .uses_dynamic_stack: false
    .vgpr_count:     7
    .vgpr_spill_count: 0
    .wavefront_size: 32
    .workgroup_processor_mode: 1
  - .args:
      - .offset:         0
        .size:           4
        .value_kind:     by_value
      - .offset:         4
        .size:           4
        .value_kind:     by_value
      - .offset:         8
        .size:           8
        .value_kind:     by_value
      - .offset:         16
        .size:           8
        .value_kind:     by_value
      - .offset:         24
        .size:           4
        .value_kind:     by_value
      - .address_space:  global
        .offset:         32
        .size:           8
        .value_kind:     global_buffer
      - .address_space:  global
        .offset:         40
        .size:           8
        .value_kind:     global_buffer
      - .address_space:  global
        .offset:         48
        .size:           8
        .value_kind:     global_buffer
      - .address_space:  global
        .offset:         56
        .size:           8
        .value_kind:     global_buffer
      - .offset:         64
        .size:           4
        .value_kind:     by_value
    .group_segment_fixed_size: 0
    .kernarg_segment_align: 8
    .kernarg_segment_size: 68
    .language:       OpenCL C
    .language_version:
      - 2
      - 0
    .max_flat_workgroup_size: 512
    .name:           _ZN9rocsparseL16coo2dense_kernelILj512EidEEvT0_S1_ll21rocsparse_index_base_PKT1_PKS1_S7_PS3_16rocsparse_order_
    .private_segment_fixed_size: 0
    .sgpr_count:     18
    .sgpr_spill_count: 0
    .symbol:         _ZN9rocsparseL16coo2dense_kernelILj512EidEEvT0_S1_ll21rocsparse_index_base_PKT1_PKS1_S7_PS3_16rocsparse_order_.kd
    .uniform_work_group_size: 1
    .uses_dynamic_stack: false
    .vgpr_count:     8
    .vgpr_spill_count: 0
    .wavefront_size: 32
    .workgroup_processor_mode: 1
  - .args:
      - .offset:         0
        .size:           4
        .value_kind:     by_value
      - .offset:         4
        .size:           4
        .value_kind:     by_value
      - .offset:         8
        .size:           8
        .value_kind:     by_value
      - .offset:         16
        .size:           8
        .value_kind:     by_value
      - .offset:         24
        .size:           4
        .value_kind:     by_value
      - .address_space:  global
        .offset:         32
        .size:           8
        .value_kind:     global_buffer
      - .address_space:  global
        .offset:         40
        .size:           8
        .value_kind:     global_buffer
      - .address_space:  global
        .offset:         48
        .size:           8
        .value_kind:     global_buffer
      - .address_space:  global
        .offset:         56
        .size:           8
        .value_kind:     global_buffer
      - .offset:         64
        .size:           4
        .value_kind:     by_value
    .group_segment_fixed_size: 0
    .kernarg_segment_align: 8
    .kernarg_segment_size: 68
    .language:       OpenCL C
    .language_version:
      - 2
      - 0
    .max_flat_workgroup_size: 512
    .name:           _ZN9rocsparseL16coo2dense_kernelILj512Ei21rocsparse_complex_numIfEEEvT0_S3_ll21rocsparse_index_base_PKT1_PKS3_S9_PS5_16rocsparse_order_
    .private_segment_fixed_size: 0
    .sgpr_count:     18
    .sgpr_spill_count: 0
    .symbol:         _ZN9rocsparseL16coo2dense_kernelILj512Ei21rocsparse_complex_numIfEEEvT0_S3_ll21rocsparse_index_base_PKT1_PKS3_S9_PS5_16rocsparse_order_.kd
    .uniform_work_group_size: 1
    .uses_dynamic_stack: false
    .vgpr_count:     8
    .vgpr_spill_count: 0
    .wavefront_size: 32
    .workgroup_processor_mode: 1
  - .args:
      - .offset:         0
        .size:           4
        .value_kind:     by_value
      - .offset:         4
        .size:           4
        .value_kind:     by_value
      - .offset:         8
        .size:           8
        .value_kind:     by_value
      - .offset:         16
        .size:           8
        .value_kind:     by_value
      - .offset:         24
        .size:           4
        .value_kind:     by_value
      - .address_space:  global
        .offset:         32
        .size:           8
        .value_kind:     global_buffer
      - .address_space:  global
        .offset:         40
        .size:           8
        .value_kind:     global_buffer
      - .address_space:  global
        .offset:         48
        .size:           8
        .value_kind:     global_buffer
      - .address_space:  global
        .offset:         56
        .size:           8
        .value_kind:     global_buffer
      - .offset:         64
        .size:           4
        .value_kind:     by_value
    .group_segment_fixed_size: 0
    .kernarg_segment_align: 8
    .kernarg_segment_size: 68
    .language:       OpenCL C
    .language_version:
      - 2
      - 0
    .max_flat_workgroup_size: 512
    .name:           _ZN9rocsparseL16coo2dense_kernelILj512Ei21rocsparse_complex_numIdEEEvT0_S3_ll21rocsparse_index_base_PKT1_PKS3_S9_PS5_16rocsparse_order_
    .private_segment_fixed_size: 0
    .sgpr_count:     18
    .sgpr_spill_count: 0
    .symbol:         _ZN9rocsparseL16coo2dense_kernelILj512Ei21rocsparse_complex_numIdEEEvT0_S3_ll21rocsparse_index_base_PKT1_PKS3_S9_PS5_16rocsparse_order_.kd
    .uniform_work_group_size: 1
    .uses_dynamic_stack: false
    .vgpr_count:     10
    .vgpr_spill_count: 0
    .wavefront_size: 32
    .workgroup_processor_mode: 1
  - .args:
      - .offset:         0
        .size:           8
        .value_kind:     by_value
      - .offset:         8
        .size:           8
        .value_kind:     by_value
      - .offset:         16
        .size:           8
        .value_kind:     by_value
      - .offset:         24
        .size:           8
        .value_kind:     by_value
      - .offset:         32
        .size:           4
        .value_kind:     by_value
      - .address_space:  global
        .offset:         40
        .size:           8
        .value_kind:     global_buffer
      - .address_space:  global
        .offset:         48
        .size:           8
        .value_kind:     global_buffer
      - .address_space:  global
        .offset:         56
        .size:           8
        .value_kind:     global_buffer
      - .address_space:  global
        .offset:         64
        .size:           8
        .value_kind:     global_buffer
      - .offset:         72
        .size:           4
        .value_kind:     by_value
    .group_segment_fixed_size: 0
    .kernarg_segment_align: 8
    .kernarg_segment_size: 76
    .language:       OpenCL C
    .language_version:
      - 2
      - 0
    .max_flat_workgroup_size: 512
    .name:           _ZN9rocsparseL16coo2dense_kernelILj512ElDF16_EEvT0_S1_ll21rocsparse_index_base_PKT1_PKS1_S7_PS3_16rocsparse_order_
    .private_segment_fixed_size: 0
    .sgpr_count:     18
    .sgpr_spill_count: 0
    .symbol:         _ZN9rocsparseL16coo2dense_kernelILj512ElDF16_EEvT0_S1_ll21rocsparse_index_base_PKT1_PKS1_S7_PS3_16rocsparse_order_.kd
    .uniform_work_group_size: 1
    .uses_dynamic_stack: false
    .vgpr_count:     9
    .vgpr_spill_count: 0
    .wavefront_size: 32
    .workgroup_processor_mode: 1
  - .args:
      - .offset:         0
        .size:           8
        .value_kind:     by_value
      - .offset:         8
        .size:           8
        .value_kind:     by_value
      - .offset:         16
        .size:           8
        .value_kind:     by_value
      - .offset:         24
        .size:           8
        .value_kind:     by_value
      - .offset:         32
        .size:           4
        .value_kind:     by_value
      - .address_space:  global
        .offset:         40
        .size:           8
        .value_kind:     global_buffer
      - .address_space:  global
        .offset:         48
        .size:           8
        .value_kind:     global_buffer
      - .address_space:  global
        .offset:         56
        .size:           8
        .value_kind:     global_buffer
      - .address_space:  global
        .offset:         64
        .size:           8
        .value_kind:     global_buffer
      - .offset:         72
        .size:           4
        .value_kind:     by_value
    .group_segment_fixed_size: 0
    .kernarg_segment_align: 8
    .kernarg_segment_size: 76
    .language:       OpenCL C
    .language_version:
      - 2
      - 0
    .max_flat_workgroup_size: 512
    .name:           _ZN9rocsparseL16coo2dense_kernelILj512El18rocsparse_bfloat16EEvT0_S2_ll21rocsparse_index_base_PKT1_PKS2_S8_PS4_16rocsparse_order_
    .private_segment_fixed_size: 0
    .sgpr_count:     18
    .sgpr_spill_count: 0
    .symbol:         _ZN9rocsparseL16coo2dense_kernelILj512El18rocsparse_bfloat16EEvT0_S2_ll21rocsparse_index_base_PKT1_PKS2_S8_PS4_16rocsparse_order_.kd
    .uniform_work_group_size: 1
    .uses_dynamic_stack: false
    .vgpr_count:     9
    .vgpr_spill_count: 0
    .wavefront_size: 32
    .workgroup_processor_mode: 1
  - .args:
      - .offset:         0
        .size:           8
        .value_kind:     by_value
      - .offset:         8
        .size:           8
        .value_kind:     by_value
      - .offset:         16
        .size:           8
        .value_kind:     by_value
      - .offset:         24
        .size:           8
        .value_kind:     by_value
      - .offset:         32
        .size:           4
        .value_kind:     by_value
      - .address_space:  global
        .offset:         40
        .size:           8
        .value_kind:     global_buffer
      - .address_space:  global
        .offset:         48
        .size:           8
        .value_kind:     global_buffer
      - .address_space:  global
        .offset:         56
        .size:           8
        .value_kind:     global_buffer
      - .address_space:  global
        .offset:         64
        .size:           8
        .value_kind:     global_buffer
      - .offset:         72
        .size:           4
        .value_kind:     by_value
    .group_segment_fixed_size: 0
    .kernarg_segment_align: 8
    .kernarg_segment_size: 76
    .language:       OpenCL C
    .language_version:
      - 2
      - 0
    .max_flat_workgroup_size: 512
    .name:           _ZN9rocsparseL16coo2dense_kernelILj512ElfEEvT0_S1_ll21rocsparse_index_base_PKT1_PKS1_S7_PS3_16rocsparse_order_
    .private_segment_fixed_size: 0
    .sgpr_count:     18
    .sgpr_spill_count: 0
    .symbol:         _ZN9rocsparseL16coo2dense_kernelILj512ElfEEvT0_S1_ll21rocsparse_index_base_PKT1_PKS1_S7_PS3_16rocsparse_order_.kd
    .uniform_work_group_size: 1
    .uses_dynamic_stack: false
    .vgpr_count:     9
    .vgpr_spill_count: 0
    .wavefront_size: 32
    .workgroup_processor_mode: 1
  - .args:
      - .offset:         0
        .size:           8
        .value_kind:     by_value
      - .offset:         8
        .size:           8
        .value_kind:     by_value
      - .offset:         16
        .size:           8
        .value_kind:     by_value
      - .offset:         24
        .size:           8
        .value_kind:     by_value
      - .offset:         32
        .size:           4
        .value_kind:     by_value
      - .address_space:  global
        .offset:         40
        .size:           8
        .value_kind:     global_buffer
      - .address_space:  global
        .offset:         48
        .size:           8
        .value_kind:     global_buffer
      - .address_space:  global
        .offset:         56
        .size:           8
        .value_kind:     global_buffer
      - .address_space:  global
        .offset:         64
        .size:           8
        .value_kind:     global_buffer
      - .offset:         72
        .size:           4
        .value_kind:     by_value
    .group_segment_fixed_size: 0
    .kernarg_segment_align: 8
    .kernarg_segment_size: 76
    .language:       OpenCL C
    .language_version:
      - 2
      - 0
    .max_flat_workgroup_size: 512
    .name:           _ZN9rocsparseL16coo2dense_kernelILj512EldEEvT0_S1_ll21rocsparse_index_base_PKT1_PKS1_S7_PS3_16rocsparse_order_
    .private_segment_fixed_size: 0
    .sgpr_count:     18
    .sgpr_spill_count: 0
    .symbol:         _ZN9rocsparseL16coo2dense_kernelILj512EldEEvT0_S1_ll21rocsparse_index_base_PKT1_PKS1_S7_PS3_16rocsparse_order_.kd
    .uniform_work_group_size: 1
    .uses_dynamic_stack: false
    .vgpr_count:     10
    .vgpr_spill_count: 0
    .wavefront_size: 32
    .workgroup_processor_mode: 1
  - .args:
      - .offset:         0
        .size:           8
        .value_kind:     by_value
      - .offset:         8
        .size:           8
        .value_kind:     by_value
      - .offset:         16
        .size:           8
        .value_kind:     by_value
      - .offset:         24
        .size:           8
        .value_kind:     by_value
      - .offset:         32
        .size:           4
        .value_kind:     by_value
      - .address_space:  global
        .offset:         40
        .size:           8
        .value_kind:     global_buffer
      - .address_space:  global
        .offset:         48
        .size:           8
        .value_kind:     global_buffer
      - .address_space:  global
        .offset:         56
        .size:           8
        .value_kind:     global_buffer
      - .address_space:  global
        .offset:         64
        .size:           8
        .value_kind:     global_buffer
      - .offset:         72
        .size:           4
        .value_kind:     by_value
    .group_segment_fixed_size: 0
    .kernarg_segment_align: 8
    .kernarg_segment_size: 76
    .language:       OpenCL C
    .language_version:
      - 2
      - 0
    .max_flat_workgroup_size: 512
    .name:           _ZN9rocsparseL16coo2dense_kernelILj512El21rocsparse_complex_numIfEEEvT0_S3_ll21rocsparse_index_base_PKT1_PKS3_S9_PS5_16rocsparse_order_
    .private_segment_fixed_size: 0
    .sgpr_count:     18
    .sgpr_spill_count: 0
    .symbol:         _ZN9rocsparseL16coo2dense_kernelILj512El21rocsparse_complex_numIfEEEvT0_S3_ll21rocsparse_index_base_PKT1_PKS3_S9_PS5_16rocsparse_order_.kd
    .uniform_work_group_size: 1
    .uses_dynamic_stack: false
    .vgpr_count:     10
    .vgpr_spill_count: 0
    .wavefront_size: 32
    .workgroup_processor_mode: 1
  - .args:
      - .offset:         0
        .size:           8
        .value_kind:     by_value
      - .offset:         8
        .size:           8
        .value_kind:     by_value
      - .offset:         16
        .size:           8
        .value_kind:     by_value
      - .offset:         24
        .size:           8
        .value_kind:     by_value
      - .offset:         32
        .size:           4
        .value_kind:     by_value
      - .address_space:  global
        .offset:         40
        .size:           8
        .value_kind:     global_buffer
      - .address_space:  global
        .offset:         48
        .size:           8
        .value_kind:     global_buffer
      - .address_space:  global
        .offset:         56
        .size:           8
        .value_kind:     global_buffer
      - .address_space:  global
        .offset:         64
        .size:           8
        .value_kind:     global_buffer
      - .offset:         72
        .size:           4
        .value_kind:     by_value
    .group_segment_fixed_size: 0
    .kernarg_segment_align: 8
    .kernarg_segment_size: 76
    .language:       OpenCL C
    .language_version:
      - 2
      - 0
    .max_flat_workgroup_size: 512
    .name:           _ZN9rocsparseL16coo2dense_kernelILj512El21rocsparse_complex_numIdEEEvT0_S3_ll21rocsparse_index_base_PKT1_PKS3_S9_PS5_16rocsparse_order_
    .private_segment_fixed_size: 0
    .sgpr_count:     18
    .sgpr_spill_count: 0
    .symbol:         _ZN9rocsparseL16coo2dense_kernelILj512El21rocsparse_complex_numIdEEEvT0_S3_ll21rocsparse_index_base_PKT1_PKS3_S9_PS5_16rocsparse_order_.kd
    .uniform_work_group_size: 1
    .uses_dynamic_stack: false
    .vgpr_count:     12
    .vgpr_spill_count: 0
    .wavefront_size: 32
    .workgroup_processor_mode: 1
amdhsa.target:   amdgcn-amd-amdhsa--gfx1030
amdhsa.version:
  - 1
  - 2
...

	.end_amdgpu_metadata
